;; amdgpu-corpus repo=ROCm/rocFFT kind=compiled arch=gfx1201 opt=O3
	.text
	.amdgcn_target "amdgcn-amd-amdhsa--gfx1201"
	.amdhsa_code_object_version 6
	.protected	bluestein_single_fwd_len840_dim1_dp_op_CI_CI ; -- Begin function bluestein_single_fwd_len840_dim1_dp_op_CI_CI
	.globl	bluestein_single_fwd_len840_dim1_dp_op_CI_CI
	.p2align	8
	.type	bluestein_single_fwd_len840_dim1_dp_op_CI_CI,@function
bluestein_single_fwd_len840_dim1_dp_op_CI_CI: ; @bluestein_single_fwd_len840_dim1_dp_op_CI_CI
; %bb.0:
	s_load_b128 s[8:11], s[0:1], 0x28
	v_mul_u32_u24_e32 v1, 0x493, v0
	s_mov_b32 s2, exec_lo
	v_mov_b32_e32 v6, 0
	s_delay_alu instid0(VALU_DEP_2) | instskip(NEXT) | instid1(VALU_DEP_1)
	v_lshrrev_b32_e32 v1, 16, v1
	v_add_nc_u32_e32 v5, ttmp9, v1
	s_wait_kmcnt 0x0
	s_delay_alu instid0(VALU_DEP_1)
	v_cmpx_gt_u64_e64 s[8:9], v[5:6]
	s_cbranch_execz .LBB0_39
; %bb.1:
	s_clause 0x1
	s_load_b128 s[4:7], s[0:1], 0x18
	s_load_b64 s[16:17], s[0:1], 0x0
	v_mul_lo_u16 v1, v1, 56
	v_mov_b32_e32 v6, v5
	s_movk_i32 s2, 0xfe94
	s_mov_b32 s3, -1
	s_delay_alu instid0(VALU_DEP_2)
	v_sub_nc_u16 v2, v0, v1
	scratch_store_b64 off, v[6:7], off offset:12 ; 8-byte Folded Spill
	s_wait_kmcnt 0x0
	s_load_b128 s[12:15], s[4:5], 0x0
	s_wait_kmcnt 0x0
	v_mad_co_u64_u32 v[0:1], null, s14, v5, 0
	s_mul_u64 s[4:5], s[12:13], 0x1a4
	s_mul_u64 s[2:3], s[12:13], s[2:3]
	s_delay_alu instid0(SALU_CYCLE_1) | instskip(NEXT) | instid1(VALU_DEP_1)
	s_lshl_b64 s[2:3], s[2:3], 4
	v_mad_co_u64_u32 v[5:6], null, s15, v5, v[1:2]
	s_delay_alu instid0(VALU_DEP_1) | instskip(NEXT) | instid1(VALU_DEP_1)
	v_dual_mov_b32 v1, v5 :: v_dual_and_b32 v46, 0xffff, v2
	v_mad_co_u64_u32 v[3:4], null, s12, v46, 0
	v_lshlrev_b32_e32 v20, 4, v46
	s_delay_alu instid0(VALU_DEP_3)
	v_lshlrev_b64_e32 v[0:1], 4, v[0:1]
	global_load_b128 v[47:50], v20, s[16:17] offset:6720
	v_mad_co_u64_u32 v[6:7], null, s13, v46, v[4:5]
	v_add_co_u32 v0, vcc_lo, s10, v0
	v_add_co_ci_u32_e32 v1, vcc_lo, s11, v1, vcc_lo
	s_lshl_b64 s[10:11], s[4:5], 4
	s_clause 0x1
	global_load_b128 v[51:54], v20, s[16:17]
	global_load_b128 v[130:133], v20, s[16:17] offset:896
	v_mov_b32_e32 v4, v6
	s_clause 0x8
	global_load_b128 v[134:137], v20, s[16:17] offset:7616
	global_load_b128 v[138:141], v20, s[16:17] offset:8512
	;; [unrolled: 1-line block ×9, first 2 shown]
	v_lshlrev_b64_e32 v[3:4], 4, v[3:4]
	s_delay_alu instid0(VALU_DEP_1) | instskip(SKIP_1) | instid1(VALU_DEP_2)
	v_add_co_u32 v0, vcc_lo, v0, v3
	s_wait_alu 0xfffd
	v_add_co_ci_u32_e32 v1, vcc_lo, v1, v4, vcc_lo
	s_wait_alu 0xfffe
	s_delay_alu instid0(VALU_DEP_2) | instskip(SKIP_1) | instid1(VALU_DEP_2)
	v_add_co_u32 v7, vcc_lo, v0, s10
	s_wait_alu 0xfffd
	v_add_co_ci_u32_e32 v8, vcc_lo, s11, v1, vcc_lo
	s_delay_alu instid0(VALU_DEP_2) | instskip(SKIP_1) | instid1(VALU_DEP_2)
	v_add_co_u32 v11, vcc_lo, v7, s2
	s_wait_alu 0xfffd
	v_add_co_ci_u32_e32 v12, vcc_lo, s3, v8, vcc_lo
	s_clause 0x1
	global_load_b128 v[3:6], v[0:1], off
	global_load_b128 v[7:10], v[7:8], off
	v_add_co_u32 v15, vcc_lo, v11, s10
	s_wait_alu 0xfffd
	v_add_co_ci_u32_e32 v16, vcc_lo, s11, v12, vcc_lo
	s_delay_alu instid0(VALU_DEP_2) | instskip(SKIP_1) | instid1(VALU_DEP_2)
	v_add_co_u32 v22, vcc_lo, v15, s2
	s_wait_alu 0xfffd
	v_add_co_ci_u32_e32 v23, vcc_lo, s3, v16, vcc_lo
	s_clause 0x1
	global_load_b128 v[11:14], v[11:12], off
	global_load_b128 v[15:18], v[15:16], off
	v_add_co_u32 v0, vcc_lo, v22, s10
	s_wait_alu 0xfffd
	v_add_co_ci_u32_e32 v1, vcc_lo, s11, v23, vcc_lo
	global_load_b128 v[22:25], v[22:23], off
	v_add_co_u32 v26, vcc_lo, v0, s2
	s_wait_alu 0xfffd
	v_add_co_ci_u32_e32 v27, vcc_lo, s3, v1, vcc_lo
	;; [unrolled: 4-line block ×8, first 2 shown]
	s_delay_alu instid0(VALU_DEP_2) | instskip(SKIP_1) | instid1(VALU_DEP_2)
	v_add_co_u32 v0, vcc_lo, v26, s10
	s_wait_alu 0xfffd
	v_add_co_ci_u32_e32 v1, vcc_lo, s11, v27, vcc_lo
	global_load_b128 v[80:83], v[30:31], off
	global_load_b128 v[170:173], v20, s[16:17] offset:5376
	global_load_b128 v[84:87], v[26:27], off
	global_load_b128 v[174:177], v20, s[16:17] offset:12096
	global_load_b128 v[88:91], v[0:1], off
	v_cmp_gt_u16_e32 vcc_lo, 28, v2
	s_wait_loadcnt 0x1b
	scratch_store_b128 off, v[47:50], off offset:24 ; 16-byte Folded Spill
	s_wait_loadcnt 0x1a
	scratch_store_b128 off, v[51:54], off offset:40 ; 16-byte Folded Spill
	s_wait_loadcnt 0x19
	scratch_store_b128 off, v[130:133], off offset:56 ; 16-byte Folded Spill
	s_wait_loadcnt 0x18
	scratch_store_b128 off, v[134:137], off offset:72 ; 16-byte Folded Spill
	s_wait_loadcnt 0x16
	s_clause 0x1
	scratch_store_b128 off, v[142:145], off offset:104
	scratch_store_b128 off, v[138:141], off offset:88
	s_wait_loadcnt 0x15
	scratch_store_b128 off, v[146:149], off offset:120 ; 16-byte Folded Spill
	s_wait_loadcnt 0x14
	scratch_store_b128 off, v[150:153], off offset:136 ; 16-byte Folded Spill
	s_wait_loadcnt 0x12
	s_clause 0x1
	scratch_store_b128 off, v[158:161], off offset:168
	scratch_store_b128 off, v[154:157], off offset:152
	s_wait_loadcnt 0x11
	scratch_store_b128 off, v[162:165], off offset:184 ; 16-byte Folded Spill
	s_wait_loadcnt 0x10
	scratch_store_b128 off, v[166:169], off offset:200 ; 16-byte Folded Spill
	s_wait_loadcnt 0xf
	v_mul_f64_e32 v[26:27], v[5:6], v[53:54]
	v_mul_f64_e32 v[28:29], v[3:4], v[53:54]
	s_wait_loadcnt 0xe
	v_mul_f64_e32 v[30:31], v[9:10], v[49:50]
	v_mul_f64_e32 v[32:33], v[7:8], v[49:50]
	;; [unrolled: 3-line block ×9, first 2 shown]
	v_fma_f64 v[3:4], v[3:4], v[51:52], v[26:27]
	v_fma_f64 v[5:6], v[5:6], v[51:52], -v[28:29]
	v_fma_f64 v[7:8], v[7:8], v[47:48], v[30:31]
	s_wait_loadcnt 0x6
	v_mul_f64_e32 v[110:111], v[74:75], v[156:157]
	v_mul_f64_e32 v[112:113], v[72:73], v[156:157]
	v_fma_f64 v[9:10], v[9:10], v[47:48], -v[32:33]
	v_add_co_u32 v26, s12, s16, v20
	s_wait_loadcnt 0x5
	v_mul_f64_e32 v[114:115], v[78:79], v[164:165]
	v_mul_f64_e32 v[116:117], v[76:77], v[164:165]
	v_fma_f64 v[11:12], v[11:12], v[130:131], v[34:35]
	v_fma_f64 v[13:14], v[13:14], v[130:131], -v[36:37]
	v_fma_f64 v[15:16], v[15:16], v[134:135], v[38:39]
	v_fma_f64 v[17:18], v[17:18], v[134:135], -v[40:41]
	s_wait_loadcnt 0x4
	v_mul_f64_e32 v[118:119], v[82:83], v[168:169]
	v_mul_f64_e32 v[120:121], v[80:81], v[168:169]
	s_wait_loadcnt 0x2
	v_mul_f64_e32 v[122:123], v[86:87], v[172:173]
	v_mul_f64_e32 v[124:125], v[84:85], v[172:173]
	;; [unrolled: 3-line block ×3, first 2 shown]
	v_fma_f64 v[22:23], v[22:23], v[142:143], v[42:43]
	v_fma_f64 v[56:57], v[56:57], v[138:139], v[94:95]
	v_fma_f64 v[58:59], v[58:59], v[138:139], -v[96:97]
	v_fma_f64 v[24:25], v[24:25], v[142:143], -v[92:93]
	s_clause 0x1
	scratch_store_b128 off, v[170:173], off offset:216
	scratch_store_b128 off, v[174:177], off offset:232
	v_fma_f64 v[60:61], v[60:61], v[146:147], v[98:99]
	v_fma_f64 v[62:63], v[62:63], v[146:147], -v[100:101]
	s_load_b64 s[8:9], s[0:1], 0x38
	s_load_b128 s[4:7], s[6:7], 0x0
	v_add_co_ci_u32_e64 v27, null, s17, 0, s12
	v_fma_f64 v[64:65], v[64:65], v[150:151], v[102:103]
	v_fma_f64 v[66:67], v[66:67], v[150:151], -v[104:105]
	scratch_store_b64 off, v[26:27], off    ; 8-byte Folded Spill
	v_fma_f64 v[68:69], v[68:69], v[158:159], v[106:107]
	v_fma_f64 v[70:71], v[70:71], v[158:159], -v[108:109]
	v_fma_f64 v[72:73], v[72:73], v[154:155], v[110:111]
	v_fma_f64 v[74:75], v[74:75], v[154:155], -v[112:113]
	;; [unrolled: 2-line block ×3, first 2 shown]
	ds_store_b128 v20, v[3:6]
	ds_store_b128 v20, v[11:14] offset:896
	ds_store_b128 v20, v[15:18] offset:7616
	;; [unrolled: 1-line block ×9, first 2 shown]
	v_fma_f64 v[84:85], v[84:85], v[170:171], v[122:123]
	v_fma_f64 v[86:87], v[86:87], v[170:171], -v[124:125]
	v_fma_f64 v[80:81], v[80:81], v[166:167], v[118:119]
	v_fma_f64 v[82:83], v[82:83], v[166:167], -v[120:121]
	;; [unrolled: 2-line block ×3, first 2 shown]
	ds_store_b128 v20, v[7:10] offset:6720
	ds_store_b128 v20, v[84:87] offset:5376
	;; [unrolled: 1-line block ×4, first 2 shown]
	s_and_saveexec_b32 s12, vcc_lo
	s_cbranch_execz .LBB0_3
; %bb.2:
	v_add_co_u32 v0, s2, v0, s2
	s_wait_alu 0xf1ff
	v_add_co_ci_u32_e64 v1, s2, s3, v1, s2
	s_delay_alu instid0(VALU_DEP_2) | instskip(SKIP_1) | instid1(VALU_DEP_2)
	v_add_co_u32 v12, s2, v0, s10
	s_wait_alu 0xf1ff
	v_add_co_ci_u32_e64 v13, s2, s11, v1, s2
	global_load_b128 v[0:3], v[0:1], off
	scratch_load_b64 v[8:9], off, off       ; 8-byte Folded Reload
	s_wait_loadcnt 0x0
	s_clause 0x1
	global_load_b128 v[4:7], v[8:9], off offset:6272
	global_load_b128 v[8:11], v[8:9], off offset:12992
	global_load_b128 v[12:15], v[12:13], off
	s_wait_loadcnt 0x2
	v_mul_f64_e32 v[16:17], v[2:3], v[6:7]
	v_mul_f64_e32 v[6:7], v[0:1], v[6:7]
	s_wait_loadcnt 0x0
	v_mul_f64_e32 v[18:19], v[14:15], v[10:11]
	v_mul_f64_e32 v[10:11], v[12:13], v[10:11]
	s_delay_alu instid0(VALU_DEP_4) | instskip(NEXT) | instid1(VALU_DEP_4)
	v_fma_f64 v[0:1], v[0:1], v[4:5], v[16:17]
	v_fma_f64 v[2:3], v[2:3], v[4:5], -v[6:7]
	s_delay_alu instid0(VALU_DEP_4) | instskip(NEXT) | instid1(VALU_DEP_4)
	v_fma_f64 v[4:5], v[12:13], v[8:9], v[18:19]
	v_fma_f64 v[6:7], v[14:15], v[8:9], -v[10:11]
	ds_store_b128 v20, v[0:3] offset:6272
	ds_store_b128 v20, v[4:7] offset:12992
.LBB0_3:
	s_wait_alu 0xfffe
	s_or_b32 exec_lo, exec_lo, s12
	global_wb scope:SCOPE_SE
	s_wait_storecnt_dscnt 0x0
	s_wait_kmcnt 0x0
	s_barrier_signal -1
	s_barrier_wait -1
	global_inv scope:SCOPE_SE
	ds_load_b128 v[0:3], v20
	ds_load_b128 v[4:7], v20 offset:896
	ds_load_b128 v[96:99], v20 offset:7616
	;; [unrolled: 1-line block ×13, first 2 shown]
                                        ; implicit-def: $vgpr76_vgpr77
                                        ; implicit-def: $vgpr60_vgpr61
	s_and_saveexec_b32 s2, vcc_lo
	s_cbranch_execz .LBB0_5
; %bb.4:
	ds_load_b128 v[76:79], v20 offset:6272
	ds_load_b128 v[60:63], v20 offset:12992
.LBB0_5:
	s_wait_alu 0xfffe
	s_or_b32 exec_lo, exec_lo, s2
	s_wait_dscnt 0x3
	v_add_f64_e64 v[100:101], v[0:1], -v[16:17]
	v_add_f64_e64 v[102:103], v[2:3], -v[18:19]
	;; [unrolled: 1-line block ×4, first 2 shown]
	s_wait_dscnt 0x0
	v_add_f64_e64 v[60:61], v[76:77], -v[60:61]
	v_add_f64_e64 v[62:63], v[78:79], -v[62:63]
	;; [unrolled: 1-line block ×12, first 2 shown]
	s_load_b64 s[2:3], s[0:1], 0x8
	v_add_co_u32 v17, s0, v46, 56
	v_lshlrev_b32_e32 v22, 1, v46
	v_add_co_u32 v108, null, 0x188, v46
	s_wait_alu 0xf1ff
	v_add_co_ci_u32_e64 v16, null, 0, 0, s0
	v_add_co_u32 v16, s0, 0x70, v46
	s_wait_alu 0xf1ff
	v_add_co_ci_u32_e64 v18, null, 0, 0, s0
	v_add_co_u32 v18, null, 0xa8, v46
	v_add_co_u32 v19, null, 0xe0, v46
	v_add_nc_u32_e32 v27, 0x230, v22
	v_add_nc_u32_e32 v112, 0x2a0, v22
	v_lshlrev_b32_e32 v28, 5, v108
	global_wb scope:SCOPE_SE
	s_wait_kmcnt 0x0
	s_barrier_signal -1
	s_barrier_wait -1
	v_fma_f64 v[0:1], v[0:1], 2.0, -v[100:101]
	v_fma_f64 v[2:3], v[2:3], 2.0, -v[102:103]
	;; [unrolled: 1-line block ×16, first 2 shown]
	global_inv scope:SCOPE_SE
	v_lshlrev_b32_e32 v32, 5, v46
	v_lshlrev_b32_e32 v23, 1, v17
	;; [unrolled: 1-line block ×9, first 2 shown]
	s_clause 0x1
	scratch_store_b32 off, v28, off offset:384
	scratch_store_b32 off, v32, off offset:280
	v_lshlrev_b32_e32 v34, 4, v27
	v_lshlrev_b32_e32 v28, 4, v112
	;; [unrolled: 1-line block ×3, first 2 shown]
	ds_store_b128 v32, v[0:3]
	ds_store_b128 v32, v[100:103] offset:16
	ds_store_b128 v31, v[4:7]
	scratch_store_b32 off, v31, off offset:276 ; 4-byte Folded Spill
	ds_store_b128 v31, v[96:99] offset:16
	ds_store_b128 v30, v[104:107]
	scratch_store_b32 off, v30, off offset:268 ; 4-byte Folded Spill
	ds_store_b128 v30, v[92:95] offset:16
	ds_store_b128 v29, v[8:11]
	scratch_store_b32 off, v29, off offset:264 ; 4-byte Folded Spill
	ds_store_b128 v29, v[88:91] offset:16
	ds_store_b128 v33, v[68:71]
	scratch_store_b32 off, v33, off offset:284 ; 4-byte Folded Spill
	ds_store_b128 v33, v[84:87] offset:16
	ds_store_b128 v21, v[64:67] offset:8960
	scratch_store_b32 off, v34, off offset:292 ; 4-byte Folded Spill
	ds_store_b128 v34, v[80:83] offset:16
	ds_store_b128 v21, v[72:75] offset:10752
	scratch_store_b32 off, v28, off offset:272 ; 4-byte Folded Spill
	ds_store_b128 v28, v[12:15] offset:16
	s_and_saveexec_b32 s0, vcc_lo
	s_cbranch_execz .LBB0_7
; %bb.6:
	v_lshlrev_b32_e32 v0, 5, v108
	ds_store_b128 v0, v[56:59]
	ds_store_b128 v0, v[60:63] offset:16
.LBB0_7:
	s_wait_alu 0xfffe
	s_or_b32 exec_lo, exec_lo, s0
	global_wb scope:SCOPE_SE
	s_wait_storecnt_dscnt 0x0
	s_barrier_signal -1
	s_barrier_wait -1
	global_inv scope:SCOPE_SE
	ds_load_b128 v[64:67], v20
	ds_load_b128 v[68:71], v20 offset:896
	ds_load_b128 v[0:3], v20 offset:7616
	;; [unrolled: 1-line block ×13, first 2 shown]
	s_and_saveexec_b32 s0, vcc_lo
	s_cbranch_execz .LBB0_9
; %bb.8:
	ds_load_b128 v[56:59], v20 offset:6272
	ds_load_b128 v[60:63], v20 offset:12992
.LBB0_9:
	s_wait_alu 0xfffe
	s_or_b32 exec_lo, exec_lo, s0
	v_and_b32_e32 v44, 1, v46
	s_delay_alu instid0(VALU_DEP_1)
	v_lshlrev_b32_e32 v21, 4, v44
	scratch_store_b32 off, v44, off offset:376 ; 4-byte Folded Spill
	global_load_b128 v[76:79], v21, s[2:3]
	v_lshlrev_b32_e32 v21, 1, v108
	scratch_store_b32 off, v21, off offset:8 ; 4-byte Folded Spill
	v_and_or_b32 v21, 0x7c, v22, v44
	global_wb scope:SCOPE_SE
	s_wait_storecnt 0x0
	s_wait_loadcnt_dscnt 0x0
	s_barrier_signal -1
	s_barrier_wait -1
	global_inv scope:SCOPE_SE
	v_mul_f64_e32 v[28:29], v[106:107], v[78:79]
	v_mul_f64_e32 v[30:31], v[104:105], v[78:79]
	;; [unrolled: 1-line block ×16, first 2 shown]
	v_fma_f64 v[28:29], v[104:105], v[76:77], -v[28:29]
	v_fma_f64 v[30:31], v[106:107], v[76:77], v[30:31]
	v_fma_f64 v[60:61], v[60:61], v[76:77], -v[123:124]
	v_fma_f64 v[62:63], v[62:63], v[76:77], v[125:126]
	;; [unrolled: 2-line block ×8, first 2 shown]
	v_add_f64_e64 v[0:1], v[64:65], -v[28:29]
	v_add_f64_e64 v[2:3], v[66:67], -v[30:31]
	;; [unrolled: 1-line block ×16, first 2 shown]
	v_and_or_b32 v28, 0xfc, v23, v44
	v_and_or_b32 v29, 0x1fc, v24, v44
	;; [unrolled: 1-line block ×6, first 2 shown]
	v_lshlrev_b32_e32 v36, 4, v21
	v_lshlrev_b32_e32 v35, 4, v28
	;; [unrolled: 1-line block ×7, first 2 shown]
	scratch_store_b32 off, v36, off offset:344 ; 4-byte Folded Spill
	v_fma_f64 v[64:65], v[64:65], 2.0, -v[0:1]
	v_fma_f64 v[66:67], v[66:67], 2.0, -v[2:3]
	;; [unrolled: 1-line block ×16, first 2 shown]
	ds_store_b128 v36, v[64:67]
	ds_store_b128 v36, v[0:3] offset:32
	ds_store_b128 v35, v[68:71]
	scratch_store_b32 off, v35, off offset:336 ; 4-byte Folded Spill
	ds_store_b128 v35, v[4:7] offset:32
	ds_store_b128 v34, v[80:83]
	scratch_store_b32 off, v34, off offset:328 ; 4-byte Folded Spill
	;; [unrolled: 3-line block ×6, first 2 shown]
	ds_store_b128 v21, v[104:107] offset:32
	s_and_saveexec_b32 s0, vcc_lo
	s_cbranch_execz .LBB0_11
; %bb.10:
	scratch_load_b32 v0, off, off offset:8  ; 4-byte Folded Reload
	v_and_b32_e32 v1, 1, v46
	s_wait_loadcnt 0x0
	s_delay_alu instid0(VALU_DEP_1) | instskip(NEXT) | instid1(VALU_DEP_1)
	v_and_or_b32 v0, 0x37c, v0, v1
	v_lshlrev_b32_e32 v0, 4, v0
	ds_store_b128 v0, v[56:59]
	ds_store_b128 v0, v[60:63] offset:32
.LBB0_11:
	s_wait_alu 0xfffe
	s_or_b32 exec_lo, exec_lo, s0
	global_wb scope:SCOPE_SE
	s_wait_storecnt_dscnt 0x0
	s_barrier_signal -1
	s_barrier_wait -1
	global_inv scope:SCOPE_SE
	ds_load_b128 v[68:71], v20
	ds_load_b128 v[80:83], v20 offset:896
	ds_load_b128 v[0:3], v20 offset:7616
	;; [unrolled: 1-line block ×13, first 2 shown]
	s_and_saveexec_b32 s0, vcc_lo
	s_cbranch_execz .LBB0_13
; %bb.12:
	ds_load_b128 v[56:59], v20 offset:6272
	ds_load_b128 v[60:63], v20 offset:12992
.LBB0_13:
	s_wait_alu 0xfffe
	s_or_b32 exec_lo, exec_lo, s0
	v_and_b32_e32 v44, 3, v46
	s_delay_alu instid0(VALU_DEP_1)
	v_lshlrev_b32_e32 v21, 4, v44
	scratch_store_b32 off, v44, off offset:380 ; 4-byte Folded Spill
	global_load_b128 v[72:75], v21, s[2:3] offset:32
	v_and_or_b32 v21, 0x78, v22, v44
	v_and_or_b32 v22, 0xf8, v23, v44
	;; [unrolled: 1-line block ×7, first 2 shown]
	global_wb scope:SCOPE_SE
	s_wait_storecnt 0x0
	s_wait_loadcnt_dscnt 0x0
	v_lshlrev_b32_e32 v24, 4, v24
	s_barrier_signal -1
	s_barrier_wait -1
	global_inv scope:SCOPE_SE
	v_mul_f64_e32 v[28:29], v[110:111], v[74:75]
	v_mul_f64_e32 v[30:31], v[108:109], v[74:75]
	;; [unrolled: 1-line block ×14, first 2 shown]
	v_fma_f64 v[28:29], v[108:109], v[72:73], -v[28:29]
	v_fma_f64 v[30:31], v[110:111], v[72:73], v[30:31]
	v_fma_f64 v[32:33], v[0:1], v[72:73], -v[32:33]
	v_fma_f64 v[34:35], v[2:3], v[72:73], v[34:35]
	;; [unrolled: 2-line block ×4, first 2 shown]
	v_mul_f64_e32 v[117:118], v[62:63], v[74:75]
	v_mul_f64_e32 v[119:120], v[60:61], v[74:75]
	v_fma_f64 v[40:41], v[8:9], v[72:73], -v[40:41]
	v_fma_f64 v[42:43], v[10:11], v[72:73], v[42:43]
	v_fma_f64 v[108:109], v[12:13], v[72:73], -v[113:114]
	v_fma_f64 v[110:111], v[14:15], v[72:73], v[115:116]
	v_fma_f64 v[113:114], v[100:101], v[72:73], -v[121:122]
	v_fma_f64 v[115:116], v[102:103], v[72:73], v[123:124]
	v_add_f64_e64 v[0:1], v[68:69], -v[28:29]
	v_add_f64_e64 v[2:3], v[70:71], -v[30:31]
	v_add_f64_e64 v[4:5], v[80:81], -v[32:33]
	v_add_f64_e64 v[6:7], v[82:83], -v[34:35]
	v_add_f64_e64 v[8:9], v[88:89], -v[36:37]
	v_add_f64_e64 v[10:11], v[90:91], -v[38:39]
	v_add_f64_e64 v[104:105], v[92:93], -v[104:105]
	v_add_f64_e64 v[106:107], v[94:95], -v[106:107]
	v_fma_f64 v[28:29], v[60:61], v[72:73], -v[117:118]
	v_fma_f64 v[30:31], v[62:63], v[72:73], v[119:120]
	v_add_f64_e64 v[12:13], v[84:85], -v[40:41]
	v_add_f64_e64 v[14:15], v[86:87], -v[42:43]
	;; [unrolled: 1-line block ×6, first 2 shown]
	v_fma_f64 v[60:61], v[68:69], 2.0, -v[0:1]
	v_fma_f64 v[62:63], v[70:71], 2.0, -v[2:3]
	;; [unrolled: 1-line block ×8, first 2 shown]
	v_add_f64_e64 v[88:89], v[56:57], -v[28:29]
	v_add_f64_e64 v[90:91], v[58:59], -v[30:31]
	v_fma_f64 v[84:85], v[84:85], 2.0, -v[12:13]
	v_fma_f64 v[86:87], v[86:87], 2.0, -v[14:15]
	;; [unrolled: 1-line block ×6, first 2 shown]
	v_lshlrev_b32_e32 v30, 4, v21
	v_lshlrev_b32_e32 v29, 4, v22
	;; [unrolled: 1-line block ×6, first 2 shown]
	scratch_store_b32 off, v30, off offset:340 ; 4-byte Folded Spill
	ds_store_b128 v30, v[60:63]
	ds_store_b128 v30, v[0:3] offset:64
	ds_store_b128 v29, v[68:71]
	scratch_store_b32 off, v29, off offset:332 ; 4-byte Folded Spill
	ds_store_b128 v29, v[4:7] offset:64
	ds_store_b128 v28, v[80:83]
	scratch_store_b32 off, v28, off offset:324 ; 4-byte Folded Spill
	;; [unrolled: 3-line block ×6, first 2 shown]
	ds_store_b128 v21, v[108:111] offset:64
	s_and_saveexec_b32 s0, vcc_lo
	s_cbranch_execz .LBB0_15
; %bb.14:
	scratch_load_b32 v4, off, off offset:8  ; 4-byte Folded Reload
	v_fma_f64 v[2:3], v[58:59], 2.0, -v[90:91]
	v_fma_f64 v[0:1], v[56:57], 2.0, -v[88:89]
	v_and_b32_e32 v5, 3, v46
	s_wait_loadcnt 0x0
	s_delay_alu instid0(VALU_DEP_1) | instskip(NEXT) | instid1(VALU_DEP_1)
	v_and_or_b32 v4, 0x378, v4, v5
	v_lshlrev_b32_e32 v4, 4, v4
	ds_store_b128 v4, v[0:3]
	ds_store_b128 v4, v[88:91] offset:64
.LBB0_15:
	s_wait_alu 0xfffe
	s_or_b32 exec_lo, exec_lo, s0
	v_and_b32_e32 v0, 7, v46
	global_wb scope:SCOPE_SE
	s_wait_storecnt_dscnt 0x0
	s_barrier_signal -1
	s_barrier_wait -1
	global_inv scope:SCOPE_SE
	v_lshlrev_b32_e32 v1, 5, v0
	s_mov_b32 s0, 0xe8584caa
	s_mov_b32 s1, 0x3febb67a
	;; [unrolled: 1-line block ×3, first 2 shown]
	s_wait_alu 0xfffe
	s_mov_b32 s10, s0
	s_clause 0x1
	global_load_b128 v[60:63], v1, s[2:3] offset:96
	global_load_b128 v[56:59], v1, s[2:3] offset:112
	ds_load_b128 v[68:71], v20 offset:4480
	ds_load_b128 v[64:67], v20 offset:8960
	;; [unrolled: 1-line block ×5, first 2 shown]
	s_mov_b32 s12, 0x134454ff
	s_mov_b32 s13, 0x3fee6f0e
	;; [unrolled: 1-line block ×3, first 2 shown]
	s_wait_alu 0xfffe
	s_mov_b32 s14, s12
	s_mov_b32 s18, 0x372fe950
	;; [unrolled: 1-line block ×3, first 2 shown]
                                        ; implicit-def: $vgpr204_vgpr205
                                        ; implicit-def: $vgpr208_vgpr209
	s_wait_loadcnt_dscnt 0x104
	v_mul_f64_e32 v[22:23], v[68:69], v[62:63]
	s_wait_loadcnt_dscnt 0x3
	v_mul_f64_e32 v[26:27], v[66:67], v[58:59]
	v_mul_f64_e32 v[28:29], v[64:65], v[58:59]
	;; [unrolled: 1-line block ×3, first 2 shown]
	s_delay_alu instid0(VALU_DEP_4)
	v_fma_f64 v[30:31], v[70:71], v[60:61], v[22:23]
	ds_load_b128 v[22:25], v20 offset:6272
	s_wait_dscnt 0x2
	v_mul_f64_e32 v[32:33], v[11:12], v[62:63]
	v_mul_f64_e32 v[34:35], v[9:10], v[62:63]
	v_fma_f64 v[26:27], v[64:65], v[56:57], -v[26:27]
	v_fma_f64 v[13:14], v[68:69], v[60:61], -v[13:14]
	v_fma_f64 v[28:29], v[66:67], v[56:57], v[28:29]
	v_fma_f64 v[32:33], v[9:10], v[60:61], -v[32:33]
	v_fma_f64 v[34:35], v[11:12], v[60:61], v[34:35]
	s_wait_dscnt 0x1
	v_mul_f64_e32 v[9:10], v[7:8], v[58:59]
	v_mul_f64_e32 v[11:12], v[5:6], v[58:59]
	s_delay_alu instid0(VALU_DEP_2) | instskip(NEXT) | instid1(VALU_DEP_2)
	v_fma_f64 v[36:37], v[5:6], v[56:57], -v[9:10]
	v_fma_f64 v[38:39], v[7:8], v[56:57], v[11:12]
	s_wait_dscnt 0x0
	v_mul_f64_e32 v[5:6], v[24:25], v[62:63]
	v_mul_f64_e32 v[7:8], v[22:23], v[62:63]
	s_delay_alu instid0(VALU_DEP_2) | instskip(NEXT) | instid1(VALU_DEP_2)
	v_fma_f64 v[40:41], v[22:23], v[60:61], -v[5:6]
	v_fma_f64 v[42:43], v[24:25], v[60:61], v[7:8]
	ds_load_b128 v[5:8], v20 offset:10752
	ds_load_b128 v[9:12], v20 offset:11648
	s_wait_dscnt 0x1
	v_mul_f64_e32 v[22:23], v[7:8], v[58:59]
	s_delay_alu instid0(VALU_DEP_1) | instskip(SKIP_1) | instid1(VALU_DEP_1)
	v_fma_f64 v[96:97], v[5:6], v[56:57], -v[22:23]
	v_mul_f64_e32 v[5:6], v[5:6], v[58:59]
	v_fma_f64 v[98:99], v[7:8], v[56:57], v[5:6]
	ds_load_b128 v[5:8], v20 offset:7168
	ds_load_b128 v[22:25], v20 offset:8064
	s_wait_dscnt 0x1
	v_mul_f64_e32 v[64:65], v[7:8], v[62:63]
	s_delay_alu instid0(VALU_DEP_1) | instskip(SKIP_1) | instid1(VALU_DEP_1)
	v_fma_f64 v[104:105], v[5:6], v[60:61], -v[64:65]
	v_mul_f64_e32 v[5:6], v[5:6], v[62:63]
	v_fma_f64 v[106:107], v[7:8], v[60:61], v[5:6]
	v_mul_f64_e32 v[5:6], v[11:12], v[58:59]
	s_delay_alu instid0(VALU_DEP_1) | instskip(SKIP_1) | instid1(VALU_DEP_1)
	v_fma_f64 v[108:109], v[9:10], v[56:57], -v[5:6]
	v_mul_f64_e32 v[5:6], v[9:10], v[58:59]
	v_fma_f64 v[110:111], v[11:12], v[56:57], v[5:6]
	s_wait_dscnt 0x0
	v_mul_f64_e32 v[5:6], v[24:25], v[62:63]
	s_delay_alu instid0(VALU_DEP_1) | instskip(SKIP_2) | instid1(VALU_DEP_2)
	v_fma_f64 v[116:117], v[22:23], v[60:61], -v[5:6]
	v_mul_f64_e32 v[5:6], v[22:23], v[62:63]
	v_add_f64_e32 v[22:23], v[13:14], v[26:27]
	v_fma_f64 v[112:113], v[24:25], v[60:61], v[5:6]
	ds_load_b128 v[5:8], v20 offset:12544
	s_wait_dscnt 0x0
	v_mul_f64_e32 v[9:10], v[7:8], v[58:59]
	s_delay_alu instid0(VALU_DEP_1) | instskip(SKIP_1) | instid1(VALU_DEP_1)
	v_fma_f64 v[118:119], v[5:6], v[56:57], -v[9:10]
	v_mul_f64_e32 v[5:6], v[5:6], v[58:59]
	v_fma_f64 v[114:115], v[7:8], v[56:57], v[5:6]
	ds_load_b128 v[5:8], v20
	ds_load_b128 v[9:12], v20 offset:896
	ds_load_b128 v[84:87], v20 offset:1792
	;; [unrolled: 1-line block ×3, first 2 shown]
	global_wb scope:SCOPE_SE
	s_wait_dscnt 0x0
	s_barrier_signal -1
	s_barrier_wait -1
	global_inv scope:SCOPE_SE
	v_fma_f64 v[24:25], v[22:23], -0.5, v[5:6]
	v_add_f64_e32 v[22:23], v[30:31], v[28:29]
	v_add_f64_e32 v[5:6], v[5:6], v[13:14]
	v_add_f64_e64 v[13:14], v[13:14], -v[26:27]
	s_delay_alu instid0(VALU_DEP_3) | instskip(SKIP_4) | instid1(VALU_DEP_4)
	v_fma_f64 v[66:67], v[22:23], -0.5, v[7:8]
	v_add_f64_e32 v[7:8], v[7:8], v[30:31]
	v_add_f64_e64 v[30:31], v[30:31], -v[28:29]
	v_add_f64_e32 v[5:6], v[5:6], v[26:27]
	v_add_f64_e32 v[26:27], v[34:35], v[38:39]
	;; [unrolled: 1-line block ×3, first 2 shown]
	s_delay_alu instid0(VALU_DEP_4)
	v_fma_f64 v[22:23], v[30:31], s[0:1], v[24:25]
	v_fma_f64 v[64:65], v[30:31], s[10:11], v[24:25]
	v_fma_f64 v[24:25], v[13:14], s[10:11], v[66:67]
	v_fma_f64 v[66:67], v[13:14], s[0:1], v[66:67]
	v_add_f64_e32 v[13:14], v[32:33], v[36:37]
	v_add_f64_e64 v[28:29], v[34:35], -v[38:39]
	v_fma_f64 v[26:27], v[26:27], -0.5, v[11:12]
	v_add_f64_e64 v[30:31], v[32:33], -v[36:37]
	v_add_f64_e32 v[11:12], v[11:12], v[34:35]
	v_fma_f64 v[13:14], v[13:14], -0.5, v[9:10]
	v_add_f64_e32 v[9:10], v[9:10], v[32:33]
	v_add_f64_e64 v[32:33], v[42:43], -v[98:99]
	v_fma_f64 v[70:71], v[30:31], s[10:11], v[26:27]
	v_fma_f64 v[82:83], v[30:31], s[0:1], v[26:27]
	v_add_f64_e32 v[26:27], v[42:43], v[98:99]
	v_add_f64_e32 v[30:31], v[84:85], v[40:41]
	;; [unrolled: 1-line block ×3, first 2 shown]
	v_fma_f64 v[68:69], v[28:29], s[0:1], v[13:14]
	v_fma_f64 v[80:81], v[28:29], s[10:11], v[13:14]
	v_add_f64_e32 v[13:14], v[40:41], v[96:97]
	v_add_f64_e32 v[28:29], v[86:87], v[42:43]
	;; [unrolled: 1-line block ×3, first 2 shown]
	v_fma_f64 v[26:27], v[26:27], -0.5, v[86:87]
	s_delay_alu instid0(VALU_DEP_4) | instskip(NEXT) | instid1(VALU_DEP_4)
	v_fma_f64 v[13:14], v[13:14], -0.5, v[84:85]
	v_add_f64_e32 v[86:87], v[28:29], v[98:99]
	v_add_f64_e32 v[84:85], v[30:31], v[96:97]
	v_add_f64_e64 v[28:29], v[40:41], -v[96:97]
	v_add_f64_e32 v[30:31], v[92:93], v[104:105]
	v_fma_f64 v[96:97], v[32:33], s[0:1], v[13:14]
	v_fma_f64 v[100:101], v[32:33], s[10:11], v[13:14]
	v_add_f64_e32 v[13:14], v[104:105], v[108:109]
	v_fma_f64 v[98:99], v[28:29], s[10:11], v[26:27]
	v_fma_f64 v[102:103], v[28:29], s[0:1], v[26:27]
	v_add_f64_e32 v[26:27], v[106:107], v[110:111]
	v_add_f64_e32 v[28:29], v[94:95], v[106:107]
	v_add_f64_e64 v[32:33], v[106:107], -v[110:111]
	v_fma_f64 v[13:14], v[13:14], -0.5, v[92:93]
	v_add_f64_e32 v[92:93], v[30:31], v[108:109]
	v_fma_f64 v[26:27], v[26:27], -0.5, v[94:95]
	v_add_f64_e32 v[94:95], v[28:29], v[110:111]
	v_add_f64_e64 v[28:29], v[104:105], -v[108:109]
	v_fma_f64 v[104:105], v[32:33], s[0:1], v[13:14]
	v_fma_f64 v[108:109], v[32:33], s[10:11], v[13:14]
	v_add_f64_e32 v[13:14], v[116:117], v[118:119]
	s_delay_alu instid0(VALU_DEP_4)
	v_fma_f64 v[106:107], v[28:29], s[10:11], v[26:27]
	v_fma_f64 v[110:111], v[28:29], s[0:1], v[26:27]
	v_add_f64_e32 v[26:27], v[112:113], v[114:115]
	v_add_f64_e64 v[28:29], v[112:113], -v[114:115]
	v_fma_f64 v[13:14], v[13:14], -0.5, v[1:2]
	v_add_f64_e32 v[1:2], v[1:2], v[116:117]
	s_delay_alu instid0(VALU_DEP_4) | instskip(SKIP_1) | instid1(VALU_DEP_4)
	v_fma_f64 v[26:27], v[26:27], -0.5, v[3:4]
	v_add_f64_e32 v[3:4], v[3:4], v[112:113]
	v_fma_f64 v[120:121], v[28:29], s[10:11], v[13:14]
	s_delay_alu instid0(VALU_DEP_4) | instskip(SKIP_4) | instid1(VALU_DEP_1)
	v_add_f64_e32 v[112:113], v[1:2], v[118:119]
	v_add_f64_e64 v[1:2], v[116:117], -v[118:119]
	v_fma_f64 v[116:117], v[28:29], s[0:1], v[13:14]
	v_add_f64_e32 v[114:115], v[3:4], v[114:115]
	v_lshrrev_b32_e32 v3, 3, v19
	v_mul_u32_u24_e32 v3, 24, v3
	s_delay_alu instid0(VALU_DEP_1) | instskip(NEXT) | instid1(VALU_DEP_1)
	v_or_b32_e32 v3, v3, v0
	v_lshlrev_b32_e32 v3, 4, v3
	v_fma_f64 v[118:119], v[1:2], s[10:11], v[26:27]
	v_fma_f64 v[122:123], v[1:2], s[0:1], v[26:27]
	v_lshrrev_b32_e32 v1, 3, v46
	v_lshrrev_b32_e32 v2, 3, v18
	s_mov_b32 s0, 0x4755a5e
	s_mov_b32 s1, 0x3fe2cf23
	;; [unrolled: 1-line block ×3, first 2 shown]
	v_mul_u32_u24_e32 v1, 24, v1
	v_mul_u32_u24_e32 v2, 24, v2
	s_wait_alu 0xfffe
	s_mov_b32 s10, s0
	s_delay_alu instid0(VALU_DEP_2) | instskip(NEXT) | instid1(VALU_DEP_2)
	v_or_b32_e32 v1, v1, v0
	v_or_b32_e32 v2, v2, v0
	s_delay_alu instid0(VALU_DEP_2)
	v_lshlrev_b32_e32 v1, 4, v1
	ds_store_b128 v1, v[5:8]
	ds_store_b128 v1, v[22:25] offset:128
	scratch_store_b32 off, v1, off offset:368 ; 4-byte Folded Spill
	ds_store_b128 v1, v[64:67] offset:256
	v_lshrrev_b32_e32 v1, 3, v17
	s_delay_alu instid0(VALU_DEP_1) | instskip(NEXT) | instid1(VALU_DEP_1)
	v_mul_u32_u24_e32 v1, 24, v1
	v_or_b32_e32 v1, v1, v0
	s_delay_alu instid0(VALU_DEP_1)
	v_lshlrev_b32_e32 v1, 4, v1
	ds_store_b128 v1, v[9:12]
	ds_store_b128 v1, v[68:71] offset:128
	scratch_store_b32 off, v1, off offset:364 ; 4-byte Folded Spill
	ds_store_b128 v1, v[80:83] offset:256
	v_lshrrev_b32_e32 v1, 3, v16
	s_delay_alu instid0(VALU_DEP_1) | instskip(NEXT) | instid1(VALU_DEP_1)
	v_mul_u32_u24_e32 v1, 24, v1
	v_or_b32_e32 v1, v1, v0
	s_delay_alu instid0(VALU_DEP_1)
	v_lshlrev_b32_e32 v1, 4, v1
	ds_store_b128 v1, v[84:87]
	ds_store_b128 v1, v[96:99] offset:128
	scratch_store_b32 off, v1, off offset:360 ; 4-byte Folded Spill
	ds_store_b128 v1, v[100:103] offset:256
	v_and_b32_e32 v1, 0xff, v46
	s_delay_alu instid0(VALU_DEP_1) | instskip(NEXT) | instid1(VALU_DEP_1)
	v_mul_lo_u16 v1, 0xab, v1
	v_lshrrev_b16 v1, 12, v1
	s_delay_alu instid0(VALU_DEP_1) | instskip(SKIP_1) | instid1(VALU_DEP_2)
	v_mul_lo_u16 v4, v1, 24
	v_and_b32_e32 v1, 0xffff, v1
	v_sub_nc_u16 v4, v46, v4
	s_delay_alu instid0(VALU_DEP_2) | instskip(NEXT) | instid1(VALU_DEP_2)
	v_mul_u32_u24_e32 v1, 0x78, v1
	v_and_b32_e32 v0, 0xff, v4
	v_lshlrev_b32_e32 v4, 4, v2
	ds_store_b128 v4, v[92:95]
	ds_store_b128 v4, v[104:107] offset:128
	v_lshlrev_b32_e32 v2, 6, v0
	scratch_store_b32 off, v4, off offset:356 ; 4-byte Folded Spill
	ds_store_b128 v4, v[108:111] offset:256
	ds_store_b128 v3, v[112:115]
	ds_store_b128 v3, v[116:119] offset:128
	scratch_store_b32 off, v3, off offset:348 ; 4-byte Folded Spill
	ds_store_b128 v3, v[120:123] offset:256
	global_wb scope:SCOPE_SE
	s_wait_storecnt_dscnt 0x0
	s_barrier_signal -1
	s_barrier_wait -1
	global_inv scope:SCOPE_SE
	s_clause 0x1
	global_load_b128 v[68:71], v2, s[2:3] offset:352
	global_load_b128 v[30:33], v2, s[2:3] offset:368
	ds_load_b128 v[80:83], v20 offset:2688
	ds_load_b128 v[3:6], v20 offset:1792
	ds_load_b128 v[7:10], v20 offset:5376
	v_add_lshl_u32 v0, v1, v0, 4
	s_wait_loadcnt_dscnt 0x102
	v_mul_f64_e32 v[11:12], v[82:83], v[70:71]
	v_mul_f64_e32 v[13:14], v[80:81], v[70:71]
	s_wait_loadcnt 0x0
	scratch_store_b128 off, v[30:33], off offset:248 ; 16-byte Folded Spill
	v_fma_f64 v[18:19], v[80:81], v[68:69], -v[11:12]
	v_fma_f64 v[26:27], v[82:83], v[68:69], v[13:14]
	ds_load_b128 v[11:14], v20 offset:6272
	s_clause 0x1
	global_load_b128 v[108:111], v2, s[2:3] offset:400
	global_load_b128 v[104:107], v2, s[2:3] offset:384
	s_wait_dscnt 0x1
	v_mul_f64_e32 v[22:23], v[9:10], v[32:33]
	v_and_b32_e32 v2, 0xff, v17
	s_delay_alu instid0(VALU_DEP_1) | instskip(NEXT) | instid1(VALU_DEP_1)
	v_mul_lo_u16 v2, 0xab, v2
	v_lshrrev_b16 v15, 12, v2
	s_delay_alu instid0(VALU_DEP_1) | instskip(NEXT) | instid1(VALU_DEP_1)
	v_mul_lo_u16 v2, v15, 24
	v_sub_nc_u16 v2, v17, v2
	s_delay_alu instid0(VALU_DEP_1) | instskip(NEXT) | instid1(VALU_DEP_1)
	v_and_b32_e32 v21, 0xff, v2
	v_lshlrev_b32_e32 v2, 6, v21
	v_fma_f64 v[28:29], v[7:8], v[30:31], -v[22:23]
	v_mul_f64_e32 v[7:8], v[7:8], v[32:33]
	s_delay_alu instid0(VALU_DEP_1) | instskip(SKIP_4) | instid1(VALU_DEP_1)
	v_fma_f64 v[30:31], v[9:10], v[30:31], v[7:8]
	ds_load_b128 v[7:10], v20 offset:10752
	ds_load_b128 v[22:25], v20 offset:11648
	s_wait_loadcnt_dscnt 0x101
	v_mul_f64_e32 v[32:33], v[9:10], v[110:111]
	v_fma_f64 v[32:33], v[7:8], v[108:109], -v[32:33]
	v_mul_f64_e32 v[7:8], v[7:8], v[110:111]
	s_delay_alu instid0(VALU_DEP_2) | instskip(NEXT) | instid1(VALU_DEP_2)
	v_add_f64_e64 v[100:101], v[18:19], -v[32:33]
	v_fma_f64 v[34:35], v[9:10], v[108:109], v[7:8]
	ds_load_b128 v[7:10], v20 offset:8064
	ds_load_b128 v[80:83], v20 offset:7168
	s_clause 0x1
	global_load_b128 v[120:123], v2, s[2:3] offset:352
	global_load_b128 v[112:115], v2, s[2:3] offset:368
	s_wait_loadcnt_dscnt 0x201
	v_mul_f64_e32 v[36:37], v[9:10], v[106:107]
	v_add_f64_e64 v[96:97], v[26:27], -v[34:35]
	s_delay_alu instid0(VALU_DEP_2) | instskip(SKIP_1) | instid1(VALU_DEP_2)
	v_fma_f64 v[36:37], v[7:8], v[104:105], -v[36:37]
	v_mul_f64_e32 v[7:8], v[7:8], v[106:107]
	v_add_f64_e64 v[102:103], v[28:29], -v[36:37]
	s_delay_alu instid0(VALU_DEP_2)
	v_fma_f64 v[38:39], v[9:10], v[104:105], v[7:8]
	ds_load_b128 v[7:10], v20 offset:3584
	ds_load_b128 v[84:87], v20 offset:4480
	s_clause 0x1
	global_load_b128 v[124:127], v2, s[2:3] offset:384
	global_load_b128 v[116:119], v2, s[2:3] offset:400
	v_and_b32_e32 v2, 0xff, v16
	s_delay_alu instid0(VALU_DEP_1) | instskip(NEXT) | instid1(VALU_DEP_1)
	v_mul_lo_u16 v2, 0xab, v2
	v_lshrrev_b16 v44, 12, v2
	s_delay_alu instid0(VALU_DEP_1) | instskip(NEXT) | instid1(VALU_DEP_1)
	v_mul_lo_u16 v2, v44, 24
	v_sub_nc_u16 v2, v16, v2
	s_delay_alu instid0(VALU_DEP_1) | instskip(NEXT) | instid1(VALU_DEP_1)
	v_and_b32_e32 v45, 0xff, v2
	v_lshlrev_b32_e32 v2, 6, v45
	v_add_f64_e64 v[98:99], v[30:31], -v[38:39]
	s_wait_loadcnt_dscnt 0x301
	v_mul_f64_e32 v[40:41], v[9:10], v[122:123]
	s_delay_alu instid0(VALU_DEP_1) | instskip(SKIP_1) | instid1(VALU_DEP_1)
	v_fma_f64 v[40:41], v[7:8], v[120:121], -v[40:41]
	v_mul_f64_e32 v[7:8], v[7:8], v[122:123]
	v_fma_f64 v[42:43], v[9:10], v[120:121], v[7:8]
	s_wait_loadcnt 0x2
	v_mul_f64_e32 v[7:8], v[13:14], v[114:115]
	s_delay_alu instid0(VALU_DEP_1) | instskip(SKIP_1) | instid1(VALU_DEP_1)
	v_fma_f64 v[148:149], v[11:12], v[112:113], -v[7:8]
	v_mul_f64_e32 v[7:8], v[11:12], v[114:115]
	v_fma_f64 v[150:151], v[13:14], v[112:113], v[7:8]
	ds_load_b128 v[7:10], v20 offset:8960
	ds_load_b128 v[11:14], v20 offset:9856
	s_clause 0x3
	global_load_b128 v[136:139], v2, s[2:3] offset:352
	global_load_b128 v[128:131], v2, s[2:3] offset:368
	;; [unrolled: 1-line block ×4, first 2 shown]
	s_wait_loadcnt_dscnt 0x501
	v_mul_f64_e32 v[92:93], v[9:10], v[126:127]
	s_delay_alu instid0(VALU_DEP_1) | instskip(SKIP_1) | instid1(VALU_DEP_2)
	v_fma_f64 v[152:153], v[7:8], v[124:125], -v[92:93]
	v_mul_f64_e32 v[7:8], v[7:8], v[126:127]
	v_add_f64_e64 v[158:159], v[148:149], -v[152:153]
	s_delay_alu instid0(VALU_DEP_2) | instskip(SKIP_2) | instid1(VALU_DEP_1)
	v_fma_f64 v[154:155], v[9:10], v[124:125], v[7:8]
	s_wait_loadcnt 0x4
	v_mul_f64_e32 v[7:8], v[24:25], v[118:119]
	v_fma_f64 v[156:157], v[22:23], v[116:117], -v[7:8]
	v_mul_f64_e32 v[7:8], v[22:23], v[118:119]
	s_delay_alu instid0(VALU_DEP_1) | instskip(SKIP_2) | instid1(VALU_DEP_1)
	v_fma_f64 v[22:23], v[24:25], v[116:117], v[7:8]
	s_wait_loadcnt 0x3
	v_mul_f64_e32 v[7:8], v[86:87], v[138:139]
	v_fma_f64 v[24:25], v[84:85], v[136:137], -v[7:8]
	v_mul_f64_e32 v[7:8], v[84:85], v[138:139]
	s_delay_alu instid0(VALU_DEP_1) | instskip(SKIP_2) | instid1(VALU_DEP_1)
	v_fma_f64 v[164:165], v[86:87], v[136:137], v[7:8]
	s_wait_loadcnt 0x2
	v_mul_f64_e32 v[7:8], v[82:83], v[130:131]
	v_fma_f64 v[166:167], v[80:81], v[128:129], -v[7:8]
	v_mul_f64_e32 v[7:8], v[80:81], v[130:131]
	v_add_f64_e32 v[80:81], v[28:29], v[36:37]
	s_delay_alu instid0(VALU_DEP_2) | instskip(SKIP_2) | instid1(VALU_DEP_1)
	v_fma_f64 v[168:169], v[82:83], v[128:129], v[7:8]
	s_wait_loadcnt_dscnt 0x100
	v_mul_f64_e32 v[7:8], v[13:14], v[142:143]
	v_fma_f64 v[170:171], v[11:12], v[140:141], -v[7:8]
	v_mul_f64_e32 v[7:8], v[11:12], v[142:143]
	s_delay_alu instid0(VALU_DEP_1) | instskip(SKIP_3) | instid1(VALU_DEP_1)
	v_fma_f64 v[172:173], v[13:14], v[140:141], v[7:8]
	ds_load_b128 v[7:10], v20 offset:12544
	s_wait_loadcnt_dscnt 0x0
	v_mul_f64_e32 v[11:12], v[9:10], v[134:135]
	v_fma_f64 v[174:175], v[7:8], v[132:133], -v[11:12]
	v_mul_f64_e32 v[7:8], v[7:8], v[134:135]
	s_delay_alu instid0(VALU_DEP_1) | instskip(SKIP_2) | instid1(VALU_DEP_1)
	v_fma_f64 v[176:177], v[9:10], v[132:133], v[7:8]
	v_add_f64_e64 v[7:8], v[18:19], -v[28:29]
	v_add_f64_e64 v[9:10], v[32:33], -v[36:37]
	v_add_f64_e32 v[84:85], v[7:8], v[9:10]
	v_add_f64_e64 v[7:8], v[26:27], -v[30:31]
	v_add_f64_e64 v[9:10], v[34:35], -v[38:39]
	s_delay_alu instid0(VALU_DEP_1)
	v_add_f64_e32 v[86:87], v[7:8], v[9:10]
	ds_load_b128 v[7:10], v20
	ds_load_b128 v[11:14], v20 offset:896
	global_wb scope:SCOPE_SE
	s_wait_storecnt_dscnt 0x0
	s_barrier_signal -1
	s_barrier_wait -1
	global_inv scope:SCOPE_SE
	v_fma_f64 v[92:93], v[80:81], -0.5, v[7:8]
	v_add_f64_e32 v[80:81], v[30:31], v[38:39]
	s_delay_alu instid0(VALU_DEP_1) | instskip(NEXT) | instid1(VALU_DEP_3)
	v_fma_f64 v[94:95], v[80:81], -0.5, v[9:10]
	v_fma_f64 v[80:81], v[96:97], s[12:13], v[92:93]
	v_fma_f64 v[92:93], v[96:97], s[14:15], v[92:93]
	s_delay_alu instid0(VALU_DEP_3) | instskip(SKIP_1) | instid1(VALU_DEP_4)
	v_fma_f64 v[82:83], v[100:101], s[14:15], v[94:95]
	v_fma_f64 v[94:95], v[100:101], s[12:13], v[94:95]
	;; [unrolled: 1-line block ×3, first 2 shown]
	s_wait_alu 0xfffe
	s_delay_alu instid0(VALU_DEP_4) | instskip(NEXT) | instid1(VALU_DEP_4)
	v_fma_f64 v[92:93], v[98:99], s[10:11], v[92:93]
	v_fma_f64 v[82:83], v[102:103], s[10:11], v[82:83]
	s_delay_alu instid0(VALU_DEP_4) | instskip(NEXT) | instid1(VALU_DEP_4)
	v_fma_f64 v[94:95], v[102:103], s[0:1], v[94:95]
	v_fma_f64 v[80:81], v[84:85], s[18:19], v[80:81]
	s_delay_alu instid0(VALU_DEP_4) | instskip(SKIP_4) | instid1(VALU_DEP_4)
	v_fma_f64 v[84:85], v[84:85], s[18:19], v[92:93]
	v_add_f64_e32 v[92:93], v[18:19], v[32:33]
	v_fma_f64 v[82:83], v[86:87], s[18:19], v[82:83]
	v_fma_f64 v[86:87], v[86:87], s[18:19], v[94:95]
	v_add_f64_e32 v[94:95], v[26:27], v[34:35]
	v_fma_f64 v[92:93], v[92:93], -0.5, v[7:8]
	v_add_f64_e32 v[7:8], v[7:8], v[18:19]
	v_add_f64_e64 v[17:18], v[28:29], -v[18:19]
	s_delay_alu instid0(VALU_DEP_4) | instskip(SKIP_4) | instid1(VALU_DEP_4)
	v_fma_f64 v[94:95], v[94:95], -0.5, v[9:10]
	v_add_f64_e32 v[9:10], v[9:10], v[26:27]
	v_add_f64_e64 v[26:27], v[30:31], -v[26:27]
	v_add_f64_e32 v[7:8], v[7:8], v[28:29]
	v_add_f64_e64 v[28:29], v[36:37], -v[32:33]
	;; [unrolled: 2-line block ×3, first 2 shown]
	s_delay_alu instid0(VALU_DEP_4)
	v_add_f64_e32 v[7:8], v[7:8], v[36:37]
	v_fma_f64 v[36:37], v[102:103], s[12:13], v[94:95]
	v_add_f64_e32 v[17:18], v[17:18], v[28:29]
	v_add_f64_e32 v[9:10], v[9:10], v[38:39]
	v_fma_f64 v[38:39], v[102:103], s[14:15], v[94:95]
	v_add_f64_e32 v[7:8], v[7:8], v[32:33]
	v_fma_f64 v[32:33], v[98:99], s[14:15], v[92:93]
	v_add_f64_e32 v[26:27], v[26:27], v[30:31]
	v_add_f64_e32 v[9:10], v[9:10], v[34:35]
	v_fma_f64 v[34:35], v[98:99], s[12:13], v[92:93]
	s_delay_alu instid0(VALU_DEP_4) | instskip(SKIP_1) | instid1(VALU_DEP_3)
	v_fma_f64 v[28:29], v[96:97], s[0:1], v[32:33]
	v_fma_f64 v[32:33], v[100:101], s[10:11], v[36:37]
	;; [unrolled: 1-line block ×4, first 2 shown]
	s_delay_alu instid0(VALU_DEP_4) | instskip(NEXT) | instid1(VALU_DEP_4)
	v_fma_f64 v[92:93], v[17:18], s[18:19], v[28:29]
	v_fma_f64 v[94:95], v[26:27], s[18:19], v[32:33]
	v_add_f64_e64 v[28:29], v[22:23], -v[154:155]
	v_add_f64_e64 v[38:39], v[40:41], -v[156:157]
	;; [unrolled: 1-line block ×3, first 2 shown]
	v_fma_f64 v[96:97], v[17:18], s[18:19], v[30:31]
	v_fma_f64 v[98:99], v[26:27], s[18:19], v[34:35]
	v_add_f64_e64 v[17:18], v[40:41], -v[148:149]
	v_add_f64_e64 v[26:27], v[156:157], -v[152:153]
	v_add_f64_e32 v[30:31], v[150:151], v[154:155]
	v_add_f64_e64 v[34:35], v[150:151], -v[154:155]
	ds_store_b128 v0, v[7:10]
	ds_store_b128 v0, v[80:83] offset:384
	ds_store_b128 v0, v[92:95] offset:768
	ds_store_b128 v0, v[96:99] offset:1152
	scratch_store_b32 off, v0, off offset:372 ; 4-byte Folded Spill
	ds_store_b128 v0, v[84:87] offset:1536
	v_and_b32_e32 v0, 0xffff, v15
                                        ; implicit-def: $vgpr92_vgpr93
                                        ; implicit-def: $vgpr96_vgpr97
	v_add_f64_e32 v[17:18], v[17:18], v[26:27]
	v_add_f64_e64 v[26:27], v[42:43], -v[150:151]
	v_fma_f64 v[30:31], v[30:31], -0.5, v[13:14]
	s_delay_alu instid0(VALU_DEP_4) | instskip(NEXT) | instid1(VALU_DEP_1)
	v_mul_u32_u24_e32 v0, 0x78, v0
	v_add_lshl_u32 v55, v0, v21, 4
	v_and_b32_e32 v0, 0xffff, v44
	s_delay_alu instid0(VALU_DEP_1) | instskip(NEXT) | instid1(VALU_DEP_1)
	v_mul_u32_u24_e32 v0, 0x78, v0
	v_add_lshl_u32 v0, v0, v45, 4
	v_add_f64_e32 v[26:27], v[26:27], v[28:29]
	v_add_f64_e32 v[28:29], v[148:149], v[152:153]
	v_fma_f64 v[100:101], v[38:39], s[14:15], v[30:31]
	v_fma_f64 v[30:31], v[38:39], s[12:13], v[30:31]
	s_delay_alu instid0(VALU_DEP_3) | instskip(NEXT) | instid1(VALU_DEP_3)
	v_fma_f64 v[28:29], v[28:29], -0.5, v[11:12]
	v_fma_f64 v[102:103], v[158:159], s[10:11], v[100:101]
	s_delay_alu instid0(VALU_DEP_3) | instskip(NEXT) | instid1(VALU_DEP_3)
	v_fma_f64 v[30:31], v[158:159], s[0:1], v[30:31]
	v_fma_f64 v[36:37], v[32:33], s[12:13], v[28:29]
	s_delay_alu instid0(VALU_DEP_3) | instskip(SKIP_1) | instid1(VALU_DEP_4)
	v_fma_f64 v[102:103], v[26:27], s[18:19], v[102:103]
	v_fma_f64 v[28:29], v[32:33], s[14:15], v[28:29]
	;; [unrolled: 1-line block ×3, first 2 shown]
	v_add_f64_e32 v[26:27], v[42:43], v[22:23]
	v_add_f64_e64 v[30:31], v[150:151], -v[42:43]
	v_fma_f64 v[36:37], v[34:35], s[0:1], v[36:37]
	v_fma_f64 v[28:29], v[34:35], s[10:11], v[28:29]
	s_delay_alu instid0(VALU_DEP_4) | instskip(SKIP_1) | instid1(VALU_DEP_4)
	v_fma_f64 v[26:27], v[26:27], -0.5, v[13:14]
	v_add_f64_e32 v[13:14], v[13:14], v[42:43]
	v_fma_f64 v[100:101], v[17:18], s[18:19], v[36:37]
	v_add_f64_e64 v[36:37], v[152:153], -v[156:157]
	v_fma_f64 v[144:145], v[17:18], s[18:19], v[28:29]
	v_add_f64_e32 v[17:18], v[40:41], v[156:157]
	v_add_f64_e64 v[28:29], v[148:149], -v[40:41]
	v_add_f64_e32 v[13:14], v[13:14], v[150:151]
	s_delay_alu instid0(VALU_DEP_3) | instskip(SKIP_1) | instid1(VALU_DEP_3)
	v_fma_f64 v[17:18], v[17:18], -0.5, v[11:12]
	v_add_f64_e32 v[11:12], v[11:12], v[40:41]
	v_add_f64_e32 v[13:14], v[13:14], v[154:155]
	;; [unrolled: 1-line block ×3, first 2 shown]
	v_add_f64_e64 v[36:37], v[166:167], -v[170:171]
	v_fma_f64 v[40:41], v[34:35], s[14:15], v[17:18]
	v_fma_f64 v[17:18], v[34:35], s[12:13], v[17:18]
	v_add_f64_e32 v[13:14], v[13:14], v[22:23]
	v_add_f64_e64 v[22:23], v[154:155], -v[22:23]
	v_fma_f64 v[34:35], v[158:159], s[12:13], v[26:27]
	v_fma_f64 v[26:27], v[158:159], s[14:15], v[26:27]
	v_add_f64_e32 v[11:12], v[11:12], v[148:149]
	v_fma_f64 v[17:18], v[32:33], s[10:11], v[17:18]
	v_add_f64_e32 v[22:23], v[30:31], v[22:23]
	v_fma_f64 v[30:31], v[32:33], s[0:1], v[40:41]
	v_fma_f64 v[32:33], v[38:39], s[10:11], v[34:35]
	;; [unrolled: 1-line block ×3, first 2 shown]
	v_add_f64_e32 v[11:12], v[11:12], v[152:153]
	v_add_f64_e64 v[38:39], v[24:25], -v[174:175]
	v_fma_f64 v[152:153], v[28:29], s[18:19], v[17:18]
	v_add_f64_e64 v[17:18], v[166:167], -v[24:25]
	v_fma_f64 v[148:149], v[28:29], s[18:19], v[30:31]
	v_fma_f64 v[150:151], v[22:23], s[18:19], v[32:33]
	;; [unrolled: 1-line block ×3, first 2 shown]
	v_add_f64_e64 v[22:23], v[170:171], -v[174:175]
	v_add_f64_e64 v[26:27], v[172:173], -v[176:177]
	v_add_f64_e32 v[28:29], v[164:165], v[176:177]
	v_add_f64_e64 v[30:31], v[168:169], -v[172:173]
	v_add_f64_e64 v[32:33], v[164:165], -v[176:177]
	v_add_f64_e32 v[11:12], v[11:12], v[156:157]
	ds_store_b128 v55, v[11:14]
	ds_store_b128 v55, v[100:103] offset:384
	ds_store_b128 v55, v[148:151] offset:768
	ds_store_b128 v55, v[152:155] offset:1152
	ds_store_b128 v55, v[144:147] offset:1536
	v_add_f64_e32 v[17:18], v[17:18], v[22:23]
	v_add_f64_e64 v[22:23], v[168:169], -v[164:165]
	v_fma_f64 v[28:29], v[28:29], -0.5, v[5:6]
                                        ; implicit-def: $vgpr100_vgpr101
	s_delay_alu instid0(VALU_DEP_2) | instskip(SKIP_1) | instid1(VALU_DEP_3)
	v_add_f64_e32 v[22:23], v[22:23], v[26:27]
	v_add_f64_e32 v[26:27], v[24:25], v[174:175]
	v_fma_f64 v[40:41], v[36:37], s[12:13], v[28:29]
	v_fma_f64 v[28:29], v[36:37], s[14:15], v[28:29]
	s_delay_alu instid0(VALU_DEP_3) | instskip(NEXT) | instid1(VALU_DEP_3)
	v_fma_f64 v[26:27], v[26:27], -0.5, v[3:4]
	v_fma_f64 v[40:41], v[38:39], s[10:11], v[40:41]
	s_delay_alu instid0(VALU_DEP_3) | instskip(NEXT) | instid1(VALU_DEP_3)
	v_fma_f64 v[28:29], v[38:39], s[0:1], v[28:29]
	v_fma_f64 v[34:35], v[30:31], s[14:15], v[26:27]
	;; [unrolled: 1-line block ×3, first 2 shown]
	s_delay_alu instid0(VALU_DEP_4) | instskip(NEXT) | instid1(VALU_DEP_4)
	v_fma_f64 v[158:159], v[22:23], s[18:19], v[40:41]
	v_fma_f64 v[162:163], v[22:23], s[18:19], v[28:29]
	v_add_f64_e32 v[22:23], v[168:169], v[172:173]
	v_add_f64_e64 v[28:29], v[174:175], -v[170:171]
	v_fma_f64 v[34:35], v[32:33], s[0:1], v[34:35]
	v_fma_f64 v[26:27], v[32:33], s[10:11], v[26:27]
	s_delay_alu instid0(VALU_DEP_4) | instskip(NEXT) | instid1(VALU_DEP_3)
	v_fma_f64 v[22:23], v[22:23], -0.5, v[5:6]
	v_fma_f64 v[156:157], v[17:18], s[18:19], v[34:35]
	s_delay_alu instid0(VALU_DEP_3) | instskip(SKIP_3) | instid1(VALU_DEP_3)
	v_fma_f64 v[160:161], v[17:18], s[18:19], v[26:27]
	v_add_f64_e32 v[17:18], v[166:167], v[170:171]
	v_add_f64_e64 v[26:27], v[164:165], -v[168:169]
	v_add_f64_e64 v[34:35], v[176:177], -v[172:173]
	v_fma_f64 v[17:18], v[17:18], -0.5, v[3:4]
	v_add_f64_e32 v[2:3], v[3:4], v[24:25]
	v_add_f64_e32 v[4:5], v[5:6], v[164:165]
	v_add_f64_e64 v[24:25], v[24:25], -v[166:167]
	v_add_f64_e32 v[26:27], v[26:27], v[34:35]
	v_fma_f64 v[40:41], v[32:33], s[12:13], v[17:18]
	v_add_f64_e32 v[2:3], v[2:3], v[166:167]
	v_add_f64_e32 v[4:5], v[4:5], v[168:169]
	v_fma_f64 v[17:18], v[32:33], s[14:15], v[17:18]
	v_fma_f64 v[32:33], v[38:39], s[14:15], v[22:23]
	;; [unrolled: 1-line block ×3, first 2 shown]
	v_add_f64_e32 v[24:25], v[24:25], v[28:29]
	v_fma_f64 v[28:29], v[30:31], s[0:1], v[40:41]
	v_add_f64_e32 v[2:3], v[2:3], v[170:171]
	v_add_f64_e32 v[4:5], v[4:5], v[172:173]
	v_fma_f64 v[17:18], v[30:31], s[10:11], v[17:18]
	v_fma_f64 v[30:31], v[36:37], s[10:11], v[32:33]
	;; [unrolled: 1-line block ×3, first 2 shown]
	v_cmp_gt_u16_e64 s0, 8, v46
	v_fma_f64 v[164:165], v[24:25], s[18:19], v[28:29]
	v_add_f64_e32 v[2:3], v[2:3], v[174:175]
	v_add_f64_e32 v[4:5], v[4:5], v[176:177]
	v_fma_f64 v[192:193], v[24:25], s[18:19], v[17:18]
	v_fma_f64 v[166:167], v[26:27], s[18:19], v[30:31]
	;; [unrolled: 1-line block ×3, first 2 shown]
	ds_store_b128 v0, v[2:5]
	ds_store_b128 v0, v[164:167] offset:384
	ds_store_b128 v0, v[156:159] offset:768
	;; [unrolled: 1-line block ×3, first 2 shown]
	scratch_store_b32 off, v0, off offset:352 ; 4-byte Folded Spill
	ds_store_b128 v0, v[192:195] offset:1536
	global_wb scope:SCOPE_SE
	s_wait_storecnt_dscnt 0x0
	s_barrier_signal -1
	s_barrier_wait -1
	global_inv scope:SCOPE_SE
	ds_load_b128 v[200:203], v20
	ds_load_b128 v[196:199], v20 offset:896
	ds_load_b128 v[156:159], v20 offset:1920
	;; [unrolled: 1-line block ×13, first 2 shown]
	s_and_saveexec_b32 s1, s0
	s_cbranch_execz .LBB0_17
; %bb.16:
	ds_load_b128 v[192:195], v20 offset:1792
	ds_load_b128 v[88:91], v20 offset:3712
	;; [unrolled: 1-line block ×7, first 2 shown]
.LBB0_17:
	s_wait_alu 0xfffe
	s_or_b32 exec_lo, exec_lo, s1
	v_mad_co_u64_u32 v[17:18], null, 0x60, v46, s[2:3]
	s_mov_b32 s18, 0xe976ee23
	s_mov_b32 s19, 0xbfe11646
	;; [unrolled: 1-line block ×6, first 2 shown]
	s_clause 0x1
	global_load_b128 v[144:147], v[17:18], off offset:1888
	global_load_b128 v[148:151], v[17:18], off offset:1904
	s_mov_b32 s21, 0x3fdc38aa
	s_mov_b32 s25, 0x3fe948f6
	;; [unrolled: 1-line block ×11, first 2 shown]
	s_wait_alu 0xfffe
	s_mov_b32 s26, s14
	s_wait_loadcnt_dscnt 0x10b
	v_mul_f64_e32 v[0:1], v[158:159], v[146:147]
	s_delay_alu instid0(VALU_DEP_1) | instskip(SKIP_1) | instid1(VALU_DEP_1)
	v_fma_f64 v[240:241], v[156:157], v[144:145], -v[0:1]
	v_mul_f64_e32 v[0:1], v[156:157], v[146:147]
	v_fma_f64 v[242:243], v[158:159], v[144:145], v[0:1]
	s_wait_loadcnt_dscnt 0x9
	v_mul_f64_e32 v[0:1], v[154:155], v[150:151]
	s_delay_alu instid0(VALU_DEP_1) | instskip(SKIP_1) | instid1(VALU_DEP_1)
	v_fma_f64 v[244:245], v[152:153], v[148:149], -v[0:1]
	v_mul_f64_e32 v[0:1], v[152:153], v[150:151]
	v_fma_f64 v[246:247], v[154:155], v[148:149], v[0:1]
	s_clause 0x1
	global_load_b128 v[152:155], v[17:18], off offset:1968
	global_load_b128 v[156:159], v[17:18], off offset:1952
	s_wait_loadcnt_dscnt 0x101
	v_mul_f64_e32 v[0:1], v[166:167], v[154:155]
	s_delay_alu instid0(VALU_DEP_1) | instskip(SKIP_1) | instid1(VALU_DEP_2)
	v_fma_f64 v[248:249], v[164:165], v[152:153], -v[0:1]
	v_mul_f64_e32 v[0:1], v[164:165], v[154:155]
	v_add_f64_e32 v[41:42], v[240:241], v[248:249]
	s_delay_alu instid0(VALU_DEP_2) | instskip(SKIP_2) | instid1(VALU_DEP_1)
	v_fma_f64 v[250:251], v[166:167], v[152:153], v[0:1]
	s_wait_loadcnt 0x0
	v_mul_f64_e32 v[0:1], v[162:163], v[158:159]
	v_fma_f64 v[252:253], v[160:161], v[156:157], -v[0:1]
	v_mul_f64_e32 v[0:1], v[160:161], v[158:159]
	s_delay_alu instid0(VALU_DEP_1)
	v_fma_f64 v[254:255], v[162:163], v[156:157], v[0:1]
	s_clause 0x1
	global_load_b128 v[160:163], v[17:18], off offset:7264
	global_load_b128 v[164:167], v[17:18], off offset:7280
	v_add_f64_e32 v[47:48], v[246:247], v[254:255]
	s_wait_loadcnt 0x1
	v_mul_f64_e32 v[0:1], v[174:175], v[162:163]
	v_mul_f64_e32 v[2:3], v[172:173], v[162:163]
	s_wait_loadcnt 0x0
	v_mul_f64_e32 v[4:5], v[170:171], v[166:167]
	v_mul_f64_e32 v[6:7], v[168:169], v[166:167]
	s_delay_alu instid0(VALU_DEP_4) | instskip(NEXT) | instid1(VALU_DEP_4)
	v_fma_f64 v[0:1], v[172:173], v[160:161], -v[0:1]
	v_fma_f64 v[2:3], v[174:175], v[160:161], v[2:3]
	s_delay_alu instid0(VALU_DEP_4) | instskip(NEXT) | instid1(VALU_DEP_4)
	v_fma_f64 v[4:5], v[168:169], v[164:165], -v[4:5]
	v_fma_f64 v[6:7], v[170:171], v[164:165], v[6:7]
	s_clause 0x1
	global_load_b128 v[168:171], v[17:18], off offset:7344
	global_load_b128 v[172:175], v[17:18], off offset:7328
	s_wait_loadcnt_dscnt 0x100
	v_mul_f64_e32 v[8:9], v[182:183], v[170:171]
	v_mul_f64_e32 v[10:11], v[180:181], v[170:171]
	s_wait_loadcnt 0x0
	v_mul_f64_e32 v[12:13], v[178:179], v[174:175]
	v_mul_f64_e32 v[14:15], v[176:177], v[174:175]
	s_delay_alu instid0(VALU_DEP_4) | instskip(NEXT) | instid1(VALU_DEP_4)
	v_fma_f64 v[8:9], v[180:181], v[168:169], -v[8:9]
	v_fma_f64 v[10:11], v[182:183], v[168:169], v[10:11]
	s_delay_alu instid0(VALU_DEP_4) | instskip(NEXT) | instid1(VALU_DEP_4)
	v_fma_f64 v[12:13], v[176:177], v[172:173], -v[12:13]
	v_fma_f64 v[14:15], v[178:179], v[172:173], v[14:15]
	s_clause 0x1
	global_load_b128 v[176:179], v[17:18], off offset:1920
	global_load_b128 v[180:183], v[17:18], off offset:1936
	v_add_f64_e32 v[53:54], v[0:1], v[8:9]
	v_add_f64_e64 v[8:9], v[0:1], -v[8:9]
	s_wait_loadcnt 0x1
	v_mul_f64_e32 v[25:26], v[190:191], v[178:179]
	s_delay_alu instid0(VALU_DEP_1) | instskip(SKIP_1) | instid1(VALU_DEP_1)
	v_fma_f64 v[33:34], v[188:189], v[176:177], -v[25:26]
	v_mul_f64_e32 v[25:26], v[188:189], v[178:179]
	v_fma_f64 v[35:36], v[190:191], v[176:177], v[25:26]
	s_wait_loadcnt 0x0
	v_mul_f64_e32 v[25:26], v[186:187], v[182:183]
	s_delay_alu instid0(VALU_DEP_1) | instskip(SKIP_1) | instid1(VALU_DEP_1)
	v_fma_f64 v[37:38], v[184:185], v[180:181], -v[25:26]
	v_mul_f64_e32 v[25:26], v[184:185], v[182:183]
	v_fma_f64 v[39:40], v[186:187], v[180:181], v[25:26]
	s_clause 0x1
	global_load_b128 v[184:187], v[17:18], off offset:7296
	global_load_b128 v[188:191], v[17:18], off offset:7312
	scratch_store_b32 off, v46, off offset:20 ; 4-byte Folded Spill
	v_add_f64_e32 v[49:50], v[35:36], v[39:40]
	v_add_f64_e64 v[35:36], v[39:40], -v[35:36]
	v_add_f64_e64 v[39:40], v[242:243], -v[250:251]
	s_wait_loadcnt 0x1
	v_mul_f64_e32 v[17:18], v[86:87], v[186:187]
	s_delay_alu instid0(VALU_DEP_1) | instskip(SKIP_1) | instid1(VALU_DEP_1)
	v_fma_f64 v[234:235], v[84:85], v[184:185], -v[17:18]
	v_mul_f64_e32 v[17:18], v[84:85], v[186:187]
	v_fma_f64 v[232:233], v[86:87], v[184:185], v[17:18]
	s_wait_loadcnt 0x0
	v_mul_f64_e32 v[17:18], v[82:83], v[190:191]
	s_delay_alu instid0(VALU_DEP_1) | instskip(SKIP_3) | instid1(VALU_DEP_3)
	v_fma_f64 v[238:239], v[80:81], v[188:189], -v[17:18]
	v_mul_f64_e32 v[17:18], v[80:81], v[190:191]
	v_add_f64_e32 v[80:81], v[6:7], v[14:15]
	v_add_f64_e64 v[6:7], v[6:7], -v[14:15]
	v_fma_f64 v[236:237], v[82:83], v[188:189], v[17:18]
	v_add_nc_u32_e32 v17, -8, v46
	v_add_f64_e32 v[45:46], v[242:243], v[250:251]
	s_delay_alu instid0(VALU_DEP_2) | instskip(NEXT) | instid1(VALU_DEP_1)
	v_cndmask_b32_e64 v16, v17, v16, s0
	v_mul_i32_i24_e32 v17, 0x60, v16
	v_mul_hi_i32_i24_e32 v16, 0x60, v16
	s_delay_alu instid0(VALU_DEP_2) | instskip(SKIP_1) | instid1(VALU_DEP_2)
	v_add_co_u32 v25, s1, s2, v17
	s_wait_alu 0xf1ff
	v_add_co_ci_u32_e64 v26, s1, s3, v16, s1
	s_clause 0x1
	global_load_b128 v[21:24], v[25:26], off offset:1888
	global_load_b128 v[29:32], v[25:26], off offset:1904
	s_mov_b32 s2, 0x36b3c0b5
	s_mov_b32 s3, 0x3fac98ee
	v_add_f64_e32 v[82:83], v[232:233], v[236:237]
	v_add_f64_e64 v[14:15], v[236:237], -v[232:233]
	s_wait_loadcnt 0x1
	v_mul_f64_e32 v[16:17], v[90:91], v[23:24]
	s_wait_loadcnt 0x0
	v_mul_f64_e32 v[27:28], v[94:95], v[31:32]
	s_clause 0x1
	scratch_store_b128 off, v[21:24], off offset:388
	scratch_store_b128 off, v[29:32], off offset:404
	v_fma_f64 v[18:19], v[88:89], v[21:22], -v[16:17]
	v_mul_f64_e32 v[16:17], v[88:89], v[23:24]
	v_fma_f64 v[218:219], v[92:93], v[29:30], -v[27:28]
	v_mul_f64_e32 v[27:28], v[92:93], v[31:32]
	s_delay_alu instid0(VALU_DEP_3) | instskip(NEXT) | instid1(VALU_DEP_2)
	v_fma_f64 v[16:17], v[90:91], v[21:22], v[16:17]
	v_fma_f64 v[216:217], v[94:95], v[29:30], v[27:28]
	s_clause 0x1
	global_load_b128 v[21:24], v[25:26], off offset:1968
	global_load_b128 v[29:32], v[25:26], off offset:1952
	s_wait_loadcnt 0x1
	v_mul_f64_e32 v[27:28], v[102:103], v[23:24]
	scratch_store_b128 off, v[21:24], off offset:420 ; 16-byte Folded Spill
	s_wait_loadcnt 0x0
	scratch_store_b128 off, v[29:32], off offset:436 ; 16-byte Folded Spill
	v_fma_f64 v[222:223], v[100:101], v[21:22], -v[27:28]
	v_mul_f64_e32 v[27:28], v[100:101], v[23:24]
	s_delay_alu instid0(VALU_DEP_2) | instskip(NEXT) | instid1(VALU_DEP_2)
	v_add_f64_e32 v[86:87], v[18:19], v[222:223]
	v_fma_f64 v[220:221], v[102:103], v[21:22], v[27:28]
	v_mul_f64_e32 v[27:28], v[98:99], v[31:32]
	v_add_f64_e64 v[18:19], v[18:19], -v[222:223]
	s_delay_alu instid0(VALU_DEP_3) | instskip(NEXT) | instid1(VALU_DEP_3)
	v_add_f64_e32 v[90:91], v[16:17], v[220:221]
	v_fma_f64 v[226:227], v[96:97], v[29:30], -v[27:28]
	v_mul_f64_e32 v[27:28], v[96:97], v[31:32]
	v_add_f64_e64 v[16:17], v[16:17], -v[220:221]
	s_delay_alu instid0(VALU_DEP_2)
	v_fma_f64 v[224:225], v[98:99], v[29:30], v[27:28]
	s_clause 0x1
	global_load_b128 v[21:24], v[25:26], off offset:1920
	global_load_b128 v[27:30], v[25:26], off offset:1936
	v_add_f64_e64 v[98:99], v[244:245], -v[252:253]
	v_add_f64_e32 v[92:93], v[216:217], v[224:225]
	s_wait_loadcnt 0x1
	v_mul_f64_e32 v[25:26], v[206:207], v[23:24]
	scratch_store_b128 off, v[21:24], off offset:452 ; 16-byte Folded Spill
	s_wait_loadcnt 0x0
	scratch_store_b128 off, v[27:30], off offset:468 ; 16-byte Folded Spill
	v_fma_f64 v[228:229], v[204:205], v[21:22], -v[25:26]
	v_mul_f64_e32 v[25:26], v[204:205], v[23:24]
	v_add_f64_e32 v[23:24], v[2:3], v[10:11]
	v_add_f64_e64 v[10:11], v[2:3], -v[10:11]
	s_delay_alu instid0(VALU_DEP_3) | instskip(SKIP_1) | instid1(VALU_DEP_1)
	v_fma_f64 v[204:205], v[206:207], v[21:22], v[25:26]
	v_mul_f64_e32 v[25:26], v[210:211], v[29:30]
	v_fma_f64 v[230:231], v[208:209], v[27:28], -v[25:26]
	v_mul_f64_e32 v[25:26], v[208:209], v[29:30]
	v_add_f64_e32 v[208:209], v[244:245], v[252:253]
	s_delay_alu instid0(VALU_DEP_2) | instskip(SKIP_1) | instid1(VALU_DEP_3)
	v_fma_f64 v[206:207], v[210:211], v[27:28], v[25:26]
	v_add_f64_e32 v[210:211], v[33:34], v[37:38]
	v_add_f64_e32 v[25:26], v[208:209], v[41:42]
	v_add_f64_e64 v[33:34], v[37:38], -v[33:34]
	v_add_f64_e64 v[37:38], v[246:247], -v[254:255]
	v_add_f64_e32 v[94:95], v[204:205], v[206:207]
	s_delay_alu instid0(VALU_DEP_4)
	v_add_f64_e32 v[43:44], v[210:211], v[25:26]
	v_add_f64_e32 v[25:26], v[47:48], v[45:46]
	v_add_f64_e64 v[242:243], v[33:34], -v[98:99]
	v_add_f64_e64 v[244:245], v[35:36], -v[37:38]
	v_add_f64_e32 v[246:247], v[35:36], v[37:38]
	v_add_f64_e64 v[37:38], v[37:38], -v[39:40]
	v_add_f64_e64 v[35:36], v[39:40], -v[35:36]
	v_add_f64_e32 v[51:52], v[49:50], v[25:26]
	v_add_f64_e32 v[25:26], v[200:201], v[43:44]
	;; [unrolled: 1-line block ×3, first 2 shown]
	v_mul_f64_e32 v[100:101], s[18:19], v[242:243]
	v_mul_f64_e32 v[102:103], s[18:19], v[244:245]
	v_add_f64_e32 v[66:67], v[246:247], v[39:40]
	v_add_f64_e64 v[4:5], v[4:5], -v[12:13]
	v_add_f64_e64 v[12:13], v[238:239], -v[234:235]
	v_add_f64_e32 v[27:28], v[202:203], v[51:52]
	v_add_f64_e32 v[202:203], v[234:235], v[238:239]
	;; [unrolled: 1-line block ×3, first 2 shown]
	v_fma_f64 v[43:44], v[43:44], s[12:13], v[25:26]
	v_add_f64_e64 v[2:3], v[12:13], -v[4:5]
	v_add_f64_e32 v[0:1], v[12:13], v[4:5]
	v_fma_f64 v[51:52], v[51:52], s[12:13], v[27:28]
	v_add_f64_e32 v[21:22], v[202:203], v[29:30]
	v_add_f64_e32 v[29:30], v[80:81], v[23:24]
	s_delay_alu instid0(VALU_DEP_1) | instskip(NEXT) | instid1(VALU_DEP_3)
	v_add_f64_e32 v[84:85], v[82:83], v[29:30]
	v_add_f64_e32 v[29:30], v[196:197], v[21:22]
	;; [unrolled: 1-line block ×3, first 2 shown]
	s_delay_alu instid0(VALU_DEP_3) | instskip(SKIP_1) | instid1(VALU_DEP_3)
	v_add_f64_e32 v[31:32], v[198:199], v[84:85]
	v_add_f64_e32 v[198:199], v[228:229], v[230:231]
	;; [unrolled: 1-line block ×3, first 2 shown]
	v_fma_f64 v[21:22], v[21:22], s[12:13], v[29:30]
	s_delay_alu instid0(VALU_DEP_4) | instskip(NEXT) | instid1(VALU_DEP_3)
	v_fma_f64 v[84:85], v[84:85], s[12:13], v[31:32]
	v_add_f64_e32 v[88:89], v[198:199], v[212:213]
	v_add_f64_e32 v[212:213], v[92:93], v[90:91]
	s_delay_alu instid0(VALU_DEP_1) | instskip(NEXT) | instid1(VALU_DEP_3)
	v_add_f64_e32 v[96:97], v[94:95], v[212:213]
	v_add_f64_e32 v[212:213], v[192:193], v[88:89]
	v_add_f64_e64 v[192:193], v[240:241], -v[248:249]
	v_add_f64_e32 v[240:241], v[33:34], v[98:99]
	v_add_f64_e64 v[248:249], v[47:48], -v[45:46]
	v_add_f64_e64 v[47:48], v[49:50], -v[47:48]
	v_add_f64_e64 v[45:46], v[45:46], -v[49:50]
	v_add_f64_e32 v[214:215], v[194:195], v[96:97]
	v_add_f64_e64 v[194:195], v[208:209], -v[41:42]
	v_add_f64_e64 v[98:99], v[98:99], -v[192:193]
	v_add_f64_e32 v[64:65], v[240:241], v[192:193]
	v_add_f64_e64 v[41:42], v[41:42], -v[210:211]
	v_add_f64_e64 v[208:209], v[210:211], -v[208:209]
	s_wait_alu 0xfffe
	v_mul_f64_e32 v[242:243], s[2:3], v[47:48]
	v_add_f64_e64 v[33:34], v[192:193], -v[33:34]
	v_mul_f64_e32 v[45:46], s[24:25], v[45:46]
	v_fma_f64 v[88:89], v[88:89], s[12:13], v[212:213]
	v_fma_f64 v[96:97], v[96:97], s[12:13], v[214:215]
	v_fma_f64 v[244:245], v[98:99], s[10:11], -v[100:101]
	v_mul_f64_e32 v[39:40], s[10:11], v[98:99]
	v_mul_f64_e32 v[41:42], s[24:25], v[41:42]
	;; [unrolled: 1-line block ×3, first 2 shown]
	v_fma_f64 v[242:243], v[248:249], s[14:15], -v[242:243]
	v_fma_f64 v[98:99], v[248:249], s[26:27], -v[45:46]
	v_fma_f64 v[246:247], v[64:65], s[20:21], v[244:245]
	v_fma_f64 v[244:245], v[37:38], s[10:11], -v[102:103]
	v_mul_f64_e32 v[37:38], s[10:11], v[37:38]
	v_fma_f64 v[49:50], v[194:195], s[26:27], -v[41:42]
	v_fma_f64 v[240:241], v[194:195], s[14:15], -v[240:241]
	v_add_f64_e32 v[252:253], v[242:243], v[51:52]
	v_fma_f64 v[39:40], v[33:34], s[28:29], -v[39:40]
	v_add_f64_e32 v[98:99], v[98:99], v[51:52]
	v_fma_f64 v[33:34], v[33:34], s[22:23], v[100:101]
	v_fma_f64 v[244:245], v[66:67], s[20:21], v[244:245]
	v_fma_f64 v[37:38], v[35:36], s[28:29], -v[37:38]
	v_add_f64_e32 v[49:50], v[49:50], v[43:44]
	v_add_f64_e32 v[250:251], v[240:241], v[43:44]
	;; [unrolled: 1-line block ×3, first 2 shown]
	v_add_f64_e64 v[246:247], v[252:253], -v[246:247]
	v_fma_f64 v[39:40], v[64:65], s[20:21], v[39:40]
	v_fma_f64 v[35:36], v[35:36], s[22:23], v[102:103]
	;; [unrolled: 1-line block ×3, first 2 shown]
	v_add_f64_e64 v[240:241], v[250:251], -v[244:245]
	v_add_f64_e32 v[244:245], v[244:245], v[250:251]
	v_add_f64_e64 v[250:251], v[98:99], -v[39:40]
	v_add_f64_e32 v[254:255], v[39:40], v[98:99]
	v_fma_f64 v[39:40], v[47:48], s[2:3], v[45:46]
	v_fma_f64 v[45:46], v[66:67], s[20:21], v[35:36]
	v_add_f64_e64 v[47:48], v[82:83], -v[80:81]
	v_add_f64_e32 v[66:67], v[0:1], v[8:9]
	v_add_f64_e32 v[248:249], v[37:38], v[49:50]
	v_add_f64_e64 v[252:253], v[49:50], -v[37:38]
	v_fma_f64 v[37:38], v[208:209], s[2:3], v[41:42]
	v_fma_f64 v[41:42], v[64:65], s[20:21], v[33:34]
	v_add_f64_e64 v[49:50], v[4:5], -v[8:9]
	v_add_f64_e64 v[4:5], v[14:15], -v[6:7]
	;; [unrolled: 1-line block ×3, first 2 shown]
	v_add_f64_e32 v[39:40], v[39:40], v[51:52]
	v_add_f64_e32 v[51:52], v[14:15], v[6:7]
	;; [unrolled: 1-line block ×3, first 2 shown]
	v_add_f64_e64 v[43:44], v[202:203], -v[200:201]
	v_mul_f64_e32 v[98:99], s[18:19], v[4:5]
	v_add_f64_e64 v[35:36], v[39:40], -v[41:42]
	v_add_f64_e32 v[39:40], v[41:42], v[39:40]
	v_add_f64_e64 v[41:42], v[200:201], -v[53:54]
	v_add_f64_e32 v[51:52], v[51:52], v[10:11]
	;; [unrolled: 2-line block ×3, first 2 shown]
	v_add_f64_e64 v[37:38], v[37:38], -v[45:46]
	v_add_f64_e64 v[45:46], v[80:81], -v[23:24]
	v_mul_f64_e32 v[80:81], s[18:19], v[2:3]
	v_mul_f64_e32 v[0:1], s[2:3], v[43:44]
	v_add_f64_e64 v[23:24], v[23:24], -v[82:83]
	v_add_f64_e64 v[82:83], v[8:9], -v[12:13]
	v_mul_f64_e32 v[8:9], s[10:11], v[49:50]
	v_mul_f64_e32 v[2:3], s[2:3], v[47:48]
	v_fma_f64 v[4:5], v[49:50], s[10:11], -v[80:81]
	v_fma_f64 v[0:1], v[41:42], s[14:15], -v[0:1]
	v_mul_f64_e32 v[49:50], s[24:25], v[53:54]
	v_mul_f64_e32 v[23:24], s[24:25], v[23:24]
	v_fma_f64 v[8:9], v[82:83], s[28:29], -v[8:9]
	v_fma_f64 v[2:3], v[45:46], s[14:15], -v[2:3]
	v_fma_f64 v[6:7], v[66:67], s[20:21], v[4:5]
	v_fma_f64 v[4:5], v[64:65], s[10:11], -v[98:99]
	v_add_f64_e32 v[100:101], v[0:1], v[21:22]
	v_fma_f64 v[12:13], v[41:42], s[26:27], -v[49:50]
	v_fma_f64 v[41:42], v[66:67], s[20:21], v[8:9]
	v_fma_f64 v[43:44], v[43:44], s[2:3], v[49:50]
	v_add_f64_e32 v[102:103], v[2:3], v[84:85]
	v_fma_f64 v[4:5], v[51:52], s[20:21], v[4:5]
	v_add_f64_e32 v[12:13], v[12:13], v[21:22]
	s_delay_alu instid0(VALU_DEP_4) | instskip(NEXT) | instid1(VALU_DEP_4)
	v_add_f64_e32 v[21:22], v[43:44], v[21:22]
	v_add_f64_e32 v[2:3], v[6:7], v[102:103]
	v_add_f64_e64 v[6:7], v[102:103], -v[6:7]
	v_add_f64_e64 v[0:1], v[100:101], -v[4:5]
	v_add_f64_e32 v[4:5], v[4:5], v[100:101]
	v_add_f64_e64 v[100:101], v[10:11], -v[14:15]
	v_mul_f64_e32 v[10:11], s[10:11], v[64:65]
	v_fma_f64 v[14:15], v[45:46], s[26:27], -v[23:24]
	v_fma_f64 v[23:24], v[47:48], s[2:3], v[23:24]
	v_add_f64_e64 v[48:49], v[196:197], -v[86:87]
	v_add_f64_e64 v[64:65], v[94:95], -v[92:93]
	;; [unrolled: 1-line block ×3, first 2 shown]
	v_fma_f64 v[10:11], v[100:101], s[28:29], -v[10:11]
	v_add_f64_e32 v[14:15], v[14:15], v[84:85]
	v_add_f64_e32 v[23:24], v[23:24], v[84:85]
	s_delay_alu instid0(VALU_DEP_3) | instskip(NEXT) | instid1(VALU_DEP_3)
	v_fma_f64 v[45:46], v[51:52], s[20:21], v[10:11]
	v_add_f64_e64 v[10:11], v[14:15], -v[41:42]
	v_add_f64_e32 v[14:15], v[41:42], v[14:15]
	v_fma_f64 v[41:42], v[82:83], s[22:23], v[80:81]
	s_delay_alu instid0(VALU_DEP_4) | instskip(SKIP_2) | instid1(VALU_DEP_4)
	v_add_f64_e32 v[8:9], v[45:46], v[12:13]
	v_add_f64_e64 v[12:13], v[12:13], -v[45:46]
	v_fma_f64 v[45:46], v[100:101], s[22:23], v[98:99]
	v_fma_f64 v[41:42], v[66:67], s[20:21], v[41:42]
	s_delay_alu instid0(VALU_DEP_2) | instskip(NEXT) | instid1(VALU_DEP_2)
	v_fma_f64 v[45:46], v[51:52], s[20:21], v[45:46]
	v_add_f64_e64 v[234:235], v[23:24], -v[41:42]
	v_add_f64_e32 v[238:239], v[41:42], v[23:24]
	v_add_f64_e64 v[23:24], v[230:231], -v[228:229]
	v_add_f64_e64 v[41:42], v[216:217], -v[224:225]
	v_add_f64_e64 v[50:51], v[198:199], -v[196:197]
	v_add_f64_e64 v[52:53], v[92:93], -v[90:91]
	v_add_f64_e64 v[90:91], v[90:91], -v[94:95]
	v_add_f64_e32 v[232:233], v[45:46], v[21:22]
	v_add_f64_e64 v[236:237], v[21:22], -v[45:46]
	v_add_f64_e64 v[21:22], v[218:219], -v[226:227]
	;; [unrolled: 1-line block ×4, first 2 shown]
	ds_store_b128 v20, v[25:28]
	ds_store_b128 v20, v[29:32] offset:896
	ds_store_b128 v20, v[33:36] offset:1920
	;; [unrolled: 1-line block ×13, first 2 shown]
	v_add_f64_e64 v[66:67], v[23:24], -v[21:22]
	v_add_f64_e64 v[82:83], v[46:47], -v[41:42]
	v_add_f64_e32 v[43:44], v[23:24], v[21:22]
	v_add_f64_e64 v[21:22], v[21:22], -v[18:19]
	v_add_f64_e32 v[80:81], v[46:47], v[41:42]
	v_mul_f64_e32 v[41:42], s[2:3], v[50:51]
	v_mul_f64_e32 v[66:67], s[18:19], v[66:67]
	;; [unrolled: 1-line block ×3, first 2 shown]
	v_add_f64_e32 v[92:93], v[43:44], v[18:19]
	v_mul_f64_e32 v[43:44], s[2:3], v[64:65]
	v_add_f64_e32 v[80:81], v[80:81], v[16:17]
	v_add_f64_e64 v[18:19], v[18:19], -v[23:24]
	v_add_f64_e64 v[16:17], v[16:17], -v[46:47]
	v_mul_f64_e32 v[23:24], s[10:11], v[84:85]
	v_mul_f64_e32 v[46:47], s[24:25], v[86:87]
	v_fma_f64 v[41:42], v[48:49], s[14:15], -v[41:42]
	v_fma_f64 v[98:99], v[21:22], s[10:11], -v[66:67]
	;; [unrolled: 1-line block ×3, first 2 shown]
	v_mul_f64_e32 v[21:22], s[10:11], v[21:22]
	v_mul_f64_e32 v[84:85], s[24:25], v[90:91]
	v_fma_f64 v[43:44], v[52:53], s[14:15], -v[43:44]
	v_fma_f64 v[23:24], v[16:17], s[28:29], -v[23:24]
	;; [unrolled: 1-line block ×3, first 2 shown]
	v_fma_f64 v[16:17], v[16:17], s[22:23], v[82:83]
	v_add_f64_e32 v[41:42], v[41:42], v[88:89]
	v_fma_f64 v[98:99], v[92:93], s[20:21], v[98:99]
	v_fma_f64 v[100:101], v[80:81], s[20:21], v[100:101]
	v_fma_f64 v[21:22], v[18:19], s[28:29], -v[21:22]
	v_fma_f64 v[52:53], v[52:53], s[26:27], -v[84:85]
	v_fma_f64 v[18:19], v[18:19], s[22:23], v[66:67]
	v_add_f64_e32 v[44:45], v[43:44], v[96:97]
	v_fma_f64 v[23:24], v[80:81], s[20:21], v[23:24]
	v_add_f64_e32 v[48:49], v[48:49], v[88:89]
	v_fma_f64 v[16:17], v[80:81], s[20:21], v[16:17]
	v_add_f64_e64 v[192:193], v[41:42], -v[100:101]
	v_fma_f64 v[21:22], v[92:93], s[20:21], v[21:22]
	v_add_f64_e32 v[52:53], v[52:53], v[96:97]
	v_fma_f64 v[18:19], v[92:93], s[20:21], v[18:19]
	v_add_f64_e32 v[194:195], v[98:99], v[44:45]
	v_add_f64_e32 v[42:43], v[100:101], v[41:42]
	v_add_f64_e64 v[44:45], v[44:45], -v[98:99]
	v_add_f64_e32 v[200:201], v[23:24], v[48:49]
	v_add_f64_e64 v[204:205], v[48:49], -v[23:24]
	v_fma_f64 v[23:24], v[64:65], s[2:3], v[84:85]
	v_add_f64_e64 v[202:203], v[52:53], -v[21:22]
	v_add_f64_e32 v[206:207], v[21:22], v[52:53]
	v_fma_f64 v[21:22], v[50:51], s[2:3], v[46:47]
	s_delay_alu instid0(VALU_DEP_4) | instskip(NEXT) | instid1(VALU_DEP_2)
	v_add_f64_e32 v[23:24], v[23:24], v[96:97]
	v_add_f64_e32 v[21:22], v[21:22], v[88:89]
	s_delay_alu instid0(VALU_DEP_2) | instskip(SKIP_1) | instid1(VALU_DEP_3)
	v_add_f64_e64 v[218:219], v[23:24], -v[18:19]
	v_add_f64_e32 v[210:211], v[18:19], v[23:24]
	v_add_f64_e32 v[216:217], v[16:17], v[21:22]
	v_add_f64_e64 v[208:209], v[21:22], -v[16:17]
	s_and_saveexec_b32 s1, s0
	s_cbranch_execz .LBB0_19
; %bb.18:
	ds_store_b128 v20, v[212:215] offset:1792
	ds_store_b128 v20, v[216:219] offset:3712
	ds_store_b128 v20, v[200:203] offset:5632
	ds_store_b128 v20, v[192:195] offset:7552
	ds_store_b128 v20, v[42:45] offset:9472
	ds_store_b128 v20, v[204:207] offset:11392
	ds_store_b128 v20, v[208:211] offset:13312
.LBB0_19:
	s_wait_alu 0xfffe
	s_or_b32 exec_lo, exec_lo, s1
	global_wb scope:SCOPE_SE
	s_wait_storecnt_dscnt 0x0
	s_barrier_signal -1
	s_barrier_wait -1
	global_inv scope:SCOPE_SE
	scratch_load_b64 v[0:1], off, off       ; 8-byte Folded Reload
	s_add_nc_u64 s[2:3], s[16:17], 0x3480
	s_wait_loadcnt 0x0
	s_clause 0x4
	global_load_b128 v[0:3], v[0:1], off offset:13440
	global_load_b128 v[4:7], v20, s[2:3] offset:6720
	global_load_b128 v[8:11], v20, s[2:3] offset:896
	;; [unrolled: 1-line block ×4, first 2 shown]
	ds_load_b128 v[25:28], v20
	ds_load_b128 v[29:32], v20 offset:896
	ds_load_b128 v[33:36], v20 offset:6720
	s_wait_loadcnt_dscnt 0x201
	v_mul_f64_e32 v[23:24], v[31:32], v[10:11]
	v_mul_f64_e32 v[21:22], v[27:28], v[2:3]
	;; [unrolled: 1-line block ×4, first 2 shown]
	s_delay_alu instid0(VALU_DEP_4) | instskip(NEXT) | instid1(VALU_DEP_4)
	v_fma_f64 v[29:30], v[29:30], v[8:9], -v[23:24]
	v_fma_f64 v[25:26], v[25:26], v[0:1], -v[21:22]
	s_delay_alu instid0(VALU_DEP_4)
	v_fma_f64 v[27:28], v[27:28], v[0:1], v[2:3]
	ds_load_b128 v[0:3], v20 offset:5376
	s_wait_dscnt 0x1
	v_mul_f64_e32 v[21:22], v[35:36], v[6:7]
	v_mul_f64_e32 v[6:7], v[33:34], v[6:7]
	v_fma_f64 v[31:32], v[31:32], v[8:9], v[10:11]
	ds_load_b128 v[8:11], v20 offset:8512
	v_fma_f64 v[33:34], v[33:34], v[4:5], -v[21:22]
	v_fma_f64 v[35:36], v[35:36], v[4:5], v[6:7]
	ds_load_b128 v[4:7], v20 offset:7616
	s_wait_loadcnt_dscnt 0x100
	v_mul_f64_e32 v[21:22], v[6:7], v[14:15]
	v_mul_f64_e32 v[14:15], v[4:5], v[14:15]
	s_delay_alu instid0(VALU_DEP_2) | instskip(NEXT) | instid1(VALU_DEP_2)
	v_fma_f64 v[4:5], v[4:5], v[12:13], -v[21:22]
	v_fma_f64 v[6:7], v[6:7], v[12:13], v[14:15]
	ds_load_b128 v[12:15], v20 offset:1792
	ds_load_b128 v[37:40], v20 offset:2688
	s_wait_loadcnt_dscnt 0x1
	v_mul_f64_e32 v[21:22], v[14:15], v[18:19]
	v_mul_f64_e32 v[18:19], v[12:13], v[18:19]
	s_delay_alu instid0(VALU_DEP_2) | instskip(NEXT) | instid1(VALU_DEP_2)
	v_fma_f64 v[12:13], v[12:13], v[16:17], -v[21:22]
	v_fma_f64 v[14:15], v[14:15], v[16:17], v[18:19]
	s_clause 0x1
	global_load_b128 v[16:19], v20, s[2:3] offset:8512
	global_load_b128 v[220:223], v20, s[2:3] offset:9408
	s_wait_loadcnt 0x1
	v_mul_f64_e32 v[21:22], v[10:11], v[18:19]
	v_mul_f64_e32 v[18:19], v[8:9], v[18:19]
	s_delay_alu instid0(VALU_DEP_2) | instskip(NEXT) | instid1(VALU_DEP_2)
	v_fma_f64 v[8:9], v[8:9], v[16:17], -v[21:22]
	v_fma_f64 v[10:11], v[10:11], v[16:17], v[18:19]
	s_clause 0x1
	global_load_b128 v[16:19], v20, s[2:3] offset:2688
	global_load_b128 v[224:227], v20, s[2:3] offset:3584
	s_wait_loadcnt_dscnt 0x100
	v_mul_f64_e32 v[21:22], v[39:40], v[18:19]
	v_mul_f64_e32 v[18:19], v[37:38], v[18:19]
	s_delay_alu instid0(VALU_DEP_2) | instskip(NEXT) | instid1(VALU_DEP_2)
	v_fma_f64 v[37:38], v[37:38], v[16:17], -v[21:22]
	v_fma_f64 v[39:40], v[39:40], v[16:17], v[18:19]
	ds_load_b128 v[16:19], v20 offset:9408
	ds_load_b128 v[228:231], v20 offset:10304
	s_wait_dscnt 0x1
	v_mul_f64_e32 v[21:22], v[18:19], v[222:223]
	v_mul_f64_e32 v[23:24], v[16:17], v[222:223]
	s_delay_alu instid0(VALU_DEP_2) | instskip(NEXT) | instid1(VALU_DEP_2)
	v_fma_f64 v[16:17], v[16:17], v[220:221], -v[21:22]
	v_fma_f64 v[18:19], v[18:19], v[220:221], v[23:24]
	ds_load_b128 v[220:223], v20 offset:3584
	ds_load_b128 v[232:235], v20 offset:4480
	s_wait_loadcnt_dscnt 0x1
	v_mul_f64_e32 v[21:22], v[222:223], v[226:227]
	v_mul_f64_e32 v[23:24], v[220:221], v[226:227]
	s_delay_alu instid0(VALU_DEP_2) | instskip(NEXT) | instid1(VALU_DEP_2)
	v_fma_f64 v[220:221], v[220:221], v[224:225], -v[21:22]
	v_fma_f64 v[222:223], v[222:223], v[224:225], v[23:24]
	s_clause 0x3
	global_load_b128 v[224:227], v20, s[2:3] offset:10304
	global_load_b128 v[236:239], v20, s[2:3] offset:11200
	;; [unrolled: 1-line block ×4, first 2 shown]
	s_wait_loadcnt 0x3
	v_mul_f64_e32 v[21:22], v[230:231], v[226:227]
	v_mul_f64_e32 v[23:24], v[228:229], v[226:227]
	s_delay_alu instid0(VALU_DEP_2) | instskip(NEXT) | instid1(VALU_DEP_2)
	v_fma_f64 v[226:227], v[228:229], v[224:225], -v[21:22]
	v_fma_f64 v[228:229], v[230:231], v[224:225], v[23:24]
	s_wait_loadcnt_dscnt 0x100
	v_mul_f64_e32 v[21:22], v[234:235], v[242:243]
	v_mul_f64_e32 v[23:24], v[232:233], v[242:243]
	s_delay_alu instid0(VALU_DEP_2) | instskip(NEXT) | instid1(VALU_DEP_2)
	v_fma_f64 v[230:231], v[232:233], v[240:241], -v[21:22]
	v_fma_f64 v[232:233], v[234:235], v[240:241], v[23:24]
	ds_load_b128 v[240:243], v20 offset:11200
	ds_load_b128 v[248:251], v20 offset:12096
	s_wait_dscnt 0x1
	v_mul_f64_e32 v[21:22], v[242:243], v[238:239]
	v_mul_f64_e32 v[23:24], v[240:241], v[238:239]
	s_delay_alu instid0(VALU_DEP_2)
	v_fma_f64 v[234:235], v[240:241], v[236:237], -v[21:22]
	global_load_b128 v[238:241], v20, s[2:3] offset:12096
	v_fma_f64 v[236:237], v[242:243], v[236:237], v[23:24]
	s_wait_loadcnt 0x1
	v_mul_f64_e32 v[21:22], v[2:3], v[246:247]
	v_mul_f64_e32 v[23:24], v[0:1], v[246:247]
	s_delay_alu instid0(VALU_DEP_2) | instskip(NEXT) | instid1(VALU_DEP_2)
	v_fma_f64 v[0:1], v[0:1], v[244:245], -v[21:22]
	v_fma_f64 v[2:3], v[2:3], v[244:245], v[23:24]
	s_wait_loadcnt_dscnt 0x0
	v_mul_f64_e32 v[21:22], v[250:251], v[240:241]
	v_mul_f64_e32 v[23:24], v[248:249], v[240:241]
	s_delay_alu instid0(VALU_DEP_2) | instskip(NEXT) | instid1(VALU_DEP_2)
	v_fma_f64 v[240:241], v[248:249], v[238:239], -v[21:22]
	v_fma_f64 v[242:243], v[250:251], v[238:239], v[23:24]
	ds_store_b128 v20, v[25:28]
	ds_store_b128 v20, v[29:32] offset:896
	ds_store_b128 v20, v[4:7] offset:7616
	;; [unrolled: 1-line block ×13, first 2 shown]
	s_and_saveexec_b32 s1, vcc_lo
	s_cbranch_execz .LBB0_21
; %bb.20:
	s_wait_alu 0xfffe
	v_add_co_u32 v4, s2, s2, v20
	s_wait_alu 0xf1ff
	v_add_co_ci_u32_e64 v5, null, s3, 0, s2
	s_clause 0x1
	global_load_b128 v[0:3], v[4:5], off offset:6272
	global_load_b128 v[4:7], v[4:5], off offset:12992
	ds_load_b128 v[8:11], v20 offset:6272
	ds_load_b128 v[12:15], v20 offset:12992
	s_wait_loadcnt_dscnt 0x101
	v_mul_f64_e32 v[16:17], v[10:11], v[2:3]
	v_mul_f64_e32 v[2:3], v[8:9], v[2:3]
	s_wait_loadcnt_dscnt 0x0
	v_mul_f64_e32 v[18:19], v[14:15], v[6:7]
	v_mul_f64_e32 v[21:22], v[12:13], v[6:7]
	s_delay_alu instid0(VALU_DEP_4) | instskip(NEXT) | instid1(VALU_DEP_4)
	v_fma_f64 v[6:7], v[8:9], v[0:1], -v[16:17]
	v_fma_f64 v[8:9], v[10:11], v[0:1], v[2:3]
	s_delay_alu instid0(VALU_DEP_4) | instskip(NEXT) | instid1(VALU_DEP_4)
	v_fma_f64 v[0:1], v[12:13], v[4:5], -v[18:19]
	v_fma_f64 v[2:3], v[14:15], v[4:5], v[21:22]
	ds_store_b128 v20, v[6:9] offset:6272
	ds_store_b128 v20, v[0:3] offset:12992
.LBB0_21:
	s_wait_alu 0xfffe
	s_or_b32 exec_lo, exec_lo, s1
	global_wb scope:SCOPE_SE
	s_wait_dscnt 0x0
	s_barrier_signal -1
	s_barrier_wait -1
	global_inv scope:SCOPE_SE
	ds_load_b128 v[12:15], v20
	ds_load_b128 v[4:7], v20 offset:896
	ds_load_b128 v[8:11], v20 offset:7616
	;; [unrolled: 1-line block ×13, first 2 shown]
	s_and_saveexec_b32 s1, vcc_lo
	s_cbranch_execz .LBB0_23
; %bb.22:
	ds_load_b128 v[212:215], v20 offset:6272
	ds_load_b128 v[216:219], v20 offset:12992
.LBB0_23:
	s_wait_alu 0xfffe
	s_or_b32 exec_lo, exec_lo, s1
	global_wb scope:SCOPE_SE
	s_wait_dscnt 0x0
	s_barrier_signal -1
	s_barrier_wait -1
	global_inv scope:SCOPE_SE
	scratch_load_b32 v21, off, off offset:280 th:TH_LOAD_LU ; 4-byte Folded Reload
	v_add_f64_e64 v[16:17], v[12:13], -v[16:17]
	v_add_f64_e64 v[18:19], v[14:15], -v[18:19]
	;; [unrolled: 1-line block ×6, first 2 shown]
	v_fma_f64 v[12:13], v[12:13], 2.0, -v[16:17]
	v_fma_f64 v[14:15], v[14:15], 2.0, -v[18:19]
	v_fma_f64 v[4:5], v[4:5], 2.0, -v[8:9]
	v_fma_f64 v[6:7], v[6:7], 2.0, -v[10:11]
	s_wait_loadcnt 0x0
	ds_store_b128 v21, v[16:19] offset:16
	ds_store_b128 v21, v[12:15]
	scratch_load_b32 v12, off, off offset:276 th:TH_LOAD_LU ; 4-byte Folded Reload
	v_add_f64_e64 v[14:15], v[226:227], -v[246:247]
	v_add_f64_e64 v[16:17], v[232:233], -v[240:241]
	;; [unrolled: 1-line block ×3, first 2 shown]
	s_wait_loadcnt 0x0
	ds_store_b128 v12, v[4:7]
	ds_store_b128 v12, v[8:11] offset:16
	scratch_load_b32 v8, off, off offset:268 th:TH_LOAD_LU ; 4-byte Folded Reload
	v_fma_f64 v[4:5], v[252:253], 2.0, -v[0:1]
	v_fma_f64 v[6:7], v[254:255], 2.0, -v[2:3]
	v_add_f64_e64 v[10:11], v[230:231], -v[238:239]
	v_add_f64_e64 v[12:13], v[224:225], -v[244:245]
	v_fma_f64 v[35:36], v[226:227], 2.0, -v[14:15]
	v_fma_f64 v[37:38], v[232:233], 2.0, -v[16:17]
	;; [unrolled: 1-line block ×3, first 2 shown]
	s_wait_loadcnt 0x0
	ds_store_b128 v8, v[4:7]
	ds_store_b128 v8, v[0:3] offset:16
	scratch_load_b32 v21, off, off offset:264 th:TH_LOAD_LU ; 4-byte Folded Reload
	v_add_f64_e64 v[4:5], v[220:221], -v[248:249]
	v_add_f64_e64 v[6:7], v[222:223], -v[250:251]
	v_add_f64_e64 v[8:9], v[228:229], -v[236:237]
	v_fma_f64 v[31:32], v[230:231], 2.0, -v[10:11]
	v_fma_f64 v[33:34], v[224:225], 2.0, -v[12:13]
	v_add_f64_e64 v[0:1], v[212:213], -v[216:217]
	v_add_f64_e64 v[2:3], v[214:215], -v[218:219]
	v_fma_f64 v[25:26], v[220:221], 2.0, -v[4:5]
	v_fma_f64 v[27:28], v[222:223], 2.0, -v[6:7]
	;; [unrolled: 1-line block ×3, first 2 shown]
	s_wait_loadcnt 0x0
	ds_store_b128 v21, v[25:28]
	ds_store_b128 v21, v[4:7] offset:16
	scratch_load_b32 v4, off, off offset:284 th:TH_LOAD_LU ; 4-byte Folded Reload
	v_fma_f64 v[212:213], v[212:213], 2.0, -v[0:1]
	v_fma_f64 v[214:215], v[214:215], 2.0, -v[2:3]
	s_wait_loadcnt 0x0
	ds_store_b128 v4, v[29:32]
	ds_store_b128 v4, v[8:11] offset:16
	scratch_load_b32 v4, off, off offset:292 th:TH_LOAD_LU ; 4-byte Folded Reload
	s_wait_loadcnt 0x0
	ds_store_b128 v4, v[33:36]
	ds_store_b128 v4, v[12:15] offset:16
	scratch_load_b32 v4, off, off offset:272 th:TH_LOAD_LU ; 4-byte Folded Reload
	s_wait_loadcnt 0x0
	ds_store_b128 v4, v[37:40]
	ds_store_b128 v4, v[16:19] offset:16
	s_and_saveexec_b32 s1, vcc_lo
	s_cbranch_execz .LBB0_25
; %bb.24:
	scratch_load_b32 v4, off, off offset:384 th:TH_LOAD_LU ; 4-byte Folded Reload
	s_wait_loadcnt 0x0
	ds_store_b128 v4, v[212:215]
	ds_store_b128 v4, v[0:3] offset:16
.LBB0_25:
	s_wait_alu 0xfffe
	s_or_b32 exec_lo, exec_lo, s1
	global_wb scope:SCOPE_SE
	s_wait_dscnt 0x0
	s_barrier_signal -1
	s_barrier_wait -1
	global_inv scope:SCOPE_SE
	ds_load_b128 v[240:243], v20
	ds_load_b128 v[236:239], v20 offset:896
	ds_load_b128 v[252:255], v20 offset:7616
	;; [unrolled: 1-line block ×13, first 2 shown]
	s_and_saveexec_b32 s1, vcc_lo
	s_cbranch_execz .LBB0_27
; %bb.26:
	ds_load_b128 v[212:215], v20 offset:6272
	ds_load_b128 v[0:3], v20 offset:12992
.LBB0_27:
	s_wait_alu 0xfffe
	s_or_b32 exec_lo, exec_lo, s1
	s_wait_dscnt 0x7
	v_mul_f64_e32 v[29:30], v[78:79], v[14:15]
	global_wb scope:SCOPE_SE
	s_wait_dscnt 0x0
	s_barrier_signal -1
	s_barrier_wait -1
	global_inv scope:SCOPE_SE
	v_mul_f64_e32 v[21:22], v[78:79], v[18:19]
	v_mul_f64_e32 v[23:24], v[78:79], v[252:253]
	;; [unrolled: 1-line block ×4, first 2 shown]
	v_fma_f64 v[29:30], v[76:77], v[12:13], v[29:30]
	v_mul_f64_e32 v[12:13], v[78:79], v[12:13]
	v_fma_f64 v[21:22], v[76:77], v[16:17], v[21:22]
	v_mul_f64_e32 v[16:17], v[78:79], v[16:17]
	v_fma_f64 v[23:24], v[76:77], v[254:255], -v[23:24]
	v_fma_f64 v[25:26], v[76:77], v[248:249], v[25:26]
	v_fma_f64 v[27:28], v[76:77], v[250:251], -v[27:28]
	v_fma_f64 v[12:13], v[76:77], v[14:15], -v[12:13]
	v_mul_f64_e32 v[14:15], v[78:79], v[10:11]
	v_fma_f64 v[16:17], v[76:77], v[18:19], -v[16:17]
	v_mul_f64_e32 v[18:19], v[78:79], v[254:255]
	s_delay_alu instid0(VALU_DEP_3) | instskip(SKIP_1) | instid1(VALU_DEP_3)
	v_fma_f64 v[14:15], v[76:77], v[8:9], v[14:15]
	v_mul_f64_e32 v[8:9], v[78:79], v[8:9]
	v_fma_f64 v[18:19], v[76:77], v[252:253], v[18:19]
	s_delay_alu instid0(VALU_DEP_2) | instskip(SKIP_1) | instid1(VALU_DEP_2)
	v_fma_f64 v[10:11], v[76:77], v[10:11], -v[8:9]
	v_mul_f64_e32 v[8:9], v[78:79], v[246:247]
	v_add_f64_e64 v[10:11], v[226:227], -v[10:11]
	s_delay_alu instid0(VALU_DEP_2) | instskip(SKIP_1) | instid1(VALU_DEP_1)
	v_fma_f64 v[31:32], v[76:77], v[244:245], v[8:9]
	v_mul_f64_e32 v[8:9], v[78:79], v[244:245]
	v_fma_f64 v[33:34], v[76:77], v[246:247], -v[8:9]
	v_mul_f64_e32 v[8:9], v[78:79], v[6:7]
	s_delay_alu instid0(VALU_DEP_1) | instskip(SKIP_2) | instid1(VALU_DEP_1)
	v_fma_f64 v[35:36], v[76:77], v[4:5], v[8:9]
	scratch_load_b32 v8, off, off offset:344 th:TH_LOAD_LU ; 4-byte Folded Reload
	v_mul_f64_e32 v[4:5], v[78:79], v[4:5]
	v_fma_f64 v[37:38], v[76:77], v[6:7], -v[4:5]
	v_mul_f64_e32 v[4:5], v[78:79], v[2:3]
	s_delay_alu instid0(VALU_DEP_1) | instskip(SKIP_1) | instid1(VALU_DEP_1)
	v_fma_f64 v[39:40], v[76:77], v[0:1], v[4:5]
	v_mul_f64_e32 v[0:1], v[78:79], v[0:1]
	v_fma_f64 v[46:47], v[76:77], v[2:3], -v[0:1]
	v_add_f64_e64 v[0:1], v[240:241], -v[21:22]
	v_add_f64_e64 v[2:3], v[242:243], -v[16:17]
	;; [unrolled: 1-line block ×4, first 2 shown]
	s_delay_alu instid0(VALU_DEP_4) | instskip(NEXT) | instid1(VALU_DEP_4)
	v_fma_f64 v[4:5], v[240:241], 2.0, -v[0:1]
	v_fma_f64 v[6:7], v[242:243], 2.0, -v[2:3]
	s_wait_loadcnt 0x0
	ds_store_b128 v8, v[0:3] offset:32
	ds_store_b128 v8, v[4:7]
	scratch_load_b32 v8, off, off offset:336 th:TH_LOAD_LU ; 4-byte Folded Reload
	v_add_f64_e64 v[0:1], v[236:237], -v[18:19]
	v_add_f64_e64 v[2:3], v[238:239], -v[23:24]
	;; [unrolled: 1-line block ×3, first 2 shown]
	s_delay_alu instid0(VALU_DEP_3) | instskip(NEXT) | instid1(VALU_DEP_3)
	v_fma_f64 v[4:5], v[236:237], 2.0, -v[0:1]
	v_fma_f64 v[6:7], v[238:239], 2.0, -v[2:3]
	s_wait_loadcnt 0x0
	ds_store_b128 v8, v[4:7]
	ds_store_b128 v8, v[0:3] offset:32
	scratch_load_b32 v8, off, off offset:328 th:TH_LOAD_LU ; 4-byte Folded Reload
	v_add_f64_e64 v[0:1], v[232:233], -v[25:26]
	v_add_f64_e64 v[2:3], v[234:235], -v[27:28]
	v_fma_f64 v[25:26], v[220:221], 2.0, -v[16:17]
	v_fma_f64 v[27:28], v[222:223], 2.0, -v[18:19]
	s_delay_alu instid0(VALU_DEP_4) | instskip(NEXT) | instid1(VALU_DEP_4)
	v_fma_f64 v[4:5], v[232:233], 2.0, -v[0:1]
	v_fma_f64 v[6:7], v[234:235], 2.0, -v[2:3]
	s_wait_loadcnt 0x0
	ds_store_b128 v8, v[4:7]
	ds_store_b128 v8, v[0:3] offset:32
	scratch_load_b32 v21, off, off offset:320 th:TH_LOAD_LU ; 4-byte Folded Reload
	v_add_f64_e64 v[0:1], v[228:229], -v[29:30]
	v_add_f64_e64 v[2:3], v[230:231], -v[12:13]
	;; [unrolled: 1-line block ×3, first 2 shown]
	v_fma_f64 v[14:15], v[226:227], 2.0, -v[10:11]
	v_add_f64_e64 v[29:30], v[216:217], -v[35:36]
	v_fma_f64 v[35:36], v[218:219], 2.0, -v[31:32]
	v_fma_f64 v[4:5], v[228:229], 2.0, -v[0:1]
	;; [unrolled: 1-line block ×4, first 2 shown]
	v_add_f64_e64 v[228:229], v[212:213], -v[39:40]
	v_add_f64_e64 v[230:231], v[214:215], -v[46:47]
	v_fma_f64 v[33:34], v[216:217], 2.0, -v[29:30]
	s_wait_loadcnt 0x0
	ds_store_b128 v21, v[4:7]
	ds_store_b128 v21, v[0:3] offset:32
	scratch_load_b32 v0, off, off offset:312 th:TH_LOAD_LU ; 4-byte Folded Reload
	v_fma_f64 v[76:77], v[212:213], 2.0, -v[228:229]
	v_fma_f64 v[78:79], v[214:215], 2.0, -v[230:231]
	s_wait_loadcnt 0x0
	ds_store_b128 v0, v[12:15]
	ds_store_b128 v0, v[8:11] offset:32
	scratch_load_b32 v0, off, off offset:304 th:TH_LOAD_LU ; 4-byte Folded Reload
	s_wait_loadcnt 0x0
	ds_store_b128 v0, v[25:28]
	ds_store_b128 v0, v[16:19] offset:32
	scratch_load_b32 v0, off, off offset:296 th:TH_LOAD_LU ; 4-byte Folded Reload
	s_wait_loadcnt 0x0
	ds_store_b128 v0, v[33:36]
	ds_store_b128 v0, v[29:32] offset:32
	s_and_saveexec_b32 s1, vcc_lo
	s_cbranch_execz .LBB0_29
; %bb.28:
	s_clause 0x1
	scratch_load_b32 v0, off, off offset:8
	scratch_load_b32 v1, off, off offset:376 th:TH_LOAD_LU
	s_wait_loadcnt 0x0
	v_and_or_b32 v0, 0x37c, v0, v1
	s_delay_alu instid0(VALU_DEP_1)
	v_lshlrev_b32_e32 v0, 4, v0
	ds_store_b128 v0, v[76:79]
	ds_store_b128 v0, v[228:231] offset:32
.LBB0_29:
	s_wait_alu 0xfffe
	s_or_b32 exec_lo, exec_lo, s1
	global_wb scope:SCOPE_SE
	s_wait_dscnt 0x0
	s_barrier_signal -1
	s_barrier_wait -1
	global_inv scope:SCOPE_SE
	ds_load_b128 v[240:243], v20
	ds_load_b128 v[236:239], v20 offset:896
	ds_load_b128 v[248:251], v20 offset:7616
	;; [unrolled: 1-line block ×13, first 2 shown]
	s_and_saveexec_b32 s1, vcc_lo
	s_cbranch_execz .LBB0_31
; %bb.30:
	ds_load_b128 v[76:79], v20 offset:6272
	ds_load_b128 v[228:231], v20 offset:12992
.LBB0_31:
	s_wait_alu 0xfffe
	s_or_b32 exec_lo, exec_lo, s1
	s_wait_dscnt 0x7
	v_mul_f64_e32 v[29:30], v[74:75], v[10:11]
	global_wb scope:SCOPE_SE
	s_wait_dscnt 0x0
	s_barrier_signal -1
	s_barrier_wait -1
	global_inv scope:SCOPE_SE
	v_mul_f64_e32 v[21:22], v[74:75], v[18:19]
	v_mul_f64_e32 v[23:24], v[74:75], v[248:249]
	;; [unrolled: 1-line block ×4, first 2 shown]
	v_fma_f64 v[29:30], v[72:73], v[8:9], v[29:30]
	v_mul_f64_e32 v[8:9], v[74:75], v[8:9]
	v_fma_f64 v[21:22], v[72:73], v[16:17], v[21:22]
	v_mul_f64_e32 v[16:17], v[74:75], v[16:17]
	v_fma_f64 v[23:24], v[72:73], v[250:251], -v[23:24]
	v_fma_f64 v[25:26], v[72:73], v[244:245], v[25:26]
	v_fma_f64 v[27:28], v[72:73], v[246:247], -v[27:28]
	v_fma_f64 v[8:9], v[72:73], v[10:11], -v[8:9]
	v_mul_f64_e32 v[10:11], v[74:75], v[6:7]
	v_fma_f64 v[16:17], v[72:73], v[18:19], -v[16:17]
	v_mul_f64_e32 v[18:19], v[74:75], v[250:251]
	s_delay_alu instid0(VALU_DEP_3) | instskip(SKIP_1) | instid1(VALU_DEP_3)
	v_fma_f64 v[10:11], v[72:73], v[4:5], v[10:11]
	v_mul_f64_e32 v[4:5], v[74:75], v[4:5]
	v_fma_f64 v[18:19], v[72:73], v[248:249], v[18:19]
	s_delay_alu instid0(VALU_DEP_2) | instskip(SKIP_1) | instid1(VALU_DEP_1)
	v_fma_f64 v[31:32], v[72:73], v[6:7], -v[4:5]
	v_mul_f64_e32 v[4:5], v[74:75], v[14:15]
	v_fma_f64 v[33:34], v[72:73], v[12:13], v[4:5]
	v_mul_f64_e32 v[4:5], v[74:75], v[12:13]
	scratch_load_b32 v12, off, off offset:340 th:TH_LOAD_LU ; 4-byte Folded Reload
	v_fma_f64 v[35:36], v[72:73], v[14:15], -v[4:5]
	v_mul_f64_e32 v[4:5], v[74:75], v[2:3]
	s_delay_alu instid0(VALU_DEP_1) | instskip(SKIP_1) | instid1(VALU_DEP_1)
	v_fma_f64 v[37:38], v[72:73], v[0:1], v[4:5]
	v_mul_f64_e32 v[0:1], v[74:75], v[0:1]
	v_fma_f64 v[39:40], v[72:73], v[2:3], -v[0:1]
	v_mul_f64_e32 v[0:1], v[74:75], v[230:231]
	v_add_f64_e64 v[2:3], v[242:243], -v[16:17]
	v_add_f64_e64 v[16:17], v[216:217], -v[33:34]
	s_delay_alu instid0(VALU_DEP_3) | instskip(SKIP_1) | instid1(VALU_DEP_4)
	v_fma_f64 v[46:47], v[72:73], v[228:229], v[0:1]
	v_mul_f64_e32 v[0:1], v[74:75], v[228:229]
	v_fma_f64 v[6:7], v[242:243], 2.0, -v[2:3]
	s_delay_alu instid0(VALU_DEP_2) | instskip(SKIP_2) | instid1(VALU_DEP_3)
	v_fma_f64 v[48:49], v[72:73], v[230:231], -v[0:1]
	v_add_f64_e64 v[0:1], v[240:241], -v[21:22]
	v_add_f64_e64 v[72:73], v[76:77], -v[46:47]
	;; [unrolled: 1-line block ×3, first 2 shown]
	s_delay_alu instid0(VALU_DEP_3)
	v_fma_f64 v[4:5], v[240:241], 2.0, -v[0:1]
	s_wait_loadcnt 0x0
	ds_store_b128 v12, v[0:3] offset:64
	ds_store_b128 v12, v[4:7]
	scratch_load_b32 v12, off, off offset:332 th:TH_LOAD_LU ; 4-byte Folded Reload
	v_add_f64_e64 v[0:1], v[236:237], -v[18:19]
	v_add_f64_e64 v[2:3], v[238:239], -v[23:24]
	;; [unrolled: 1-line block ×3, first 2 shown]
	s_delay_alu instid0(VALU_DEP_3) | instskip(NEXT) | instid1(VALU_DEP_3)
	v_fma_f64 v[4:5], v[236:237], 2.0, -v[0:1]
	v_fma_f64 v[6:7], v[238:239], 2.0, -v[2:3]
	s_wait_loadcnt 0x0
	ds_store_b128 v12, v[4:7]
	ds_store_b128 v12, v[0:3] offset:64
	scratch_load_b32 v12, off, off offset:324 th:TH_LOAD_LU ; 4-byte Folded Reload
	v_add_f64_e64 v[0:1], v[232:233], -v[25:26]
	v_add_f64_e64 v[2:3], v[234:235], -v[27:28]
	v_fma_f64 v[25:26], v[216:217], 2.0, -v[16:17]
	v_fma_f64 v[27:28], v[218:219], 2.0, -v[18:19]
	s_delay_alu instid0(VALU_DEP_4) | instskip(NEXT) | instid1(VALU_DEP_4)
	v_fma_f64 v[4:5], v[232:233], 2.0, -v[0:1]
	v_fma_f64 v[6:7], v[234:235], 2.0, -v[2:3]
	s_wait_loadcnt 0x0
	ds_store_b128 v12, v[4:7]
	ds_store_b128 v12, v[0:3] offset:64
	scratch_load_b32 v21, off, off offset:316 th:TH_LOAD_LU ; 4-byte Folded Reload
	v_add_f64_e64 v[0:1], v[224:225], -v[29:30]
	v_add_f64_e64 v[2:3], v[226:227], -v[8:9]
	;; [unrolled: 1-line block ×6, first 2 shown]
	v_fma_f64 v[4:5], v[224:225], 2.0, -v[0:1]
	v_fma_f64 v[6:7], v[226:227], 2.0, -v[2:3]
	;; [unrolled: 1-line block ×6, first 2 shown]
	s_wait_loadcnt 0x0
	ds_store_b128 v21, v[4:7]
	ds_store_b128 v21, v[0:3] offset:64
	scratch_load_b32 v0, off, off offset:308 th:TH_LOAD_LU ; 4-byte Folded Reload
	s_wait_loadcnt 0x0
	ds_store_b128 v0, v[12:15]
	ds_store_b128 v0, v[8:11] offset:64
	scratch_load_b32 v0, off, off offset:300 th:TH_LOAD_LU ; 4-byte Folded Reload
	;; [unrolled: 4-line block ×3, first 2 shown]
	s_wait_loadcnt 0x0
	ds_store_b128 v0, v[33:36]
	ds_store_b128 v0, v[29:32] offset:64
	s_and_saveexec_b32 s1, vcc_lo
	s_cbranch_execz .LBB0_33
; %bb.32:
	s_clause 0x1
	scratch_load_b32 v4, off, off offset:8 th:TH_LOAD_LU
	scratch_load_b32 v5, off, off offset:380 th:TH_LOAD_LU
	v_fma_f64 v[2:3], v[78:79], 2.0, -v[74:75]
	v_fma_f64 v[0:1], v[76:77], 2.0, -v[72:73]
	s_wait_loadcnt 0x0
	v_and_or_b32 v4, 0x378, v4, v5
	s_delay_alu instid0(VALU_DEP_1)
	v_lshlrev_b32_e32 v4, 4, v4
	ds_store_b128 v4, v[0:3]
	ds_store_b128 v4, v[72:75] offset:64
.LBB0_33:
	s_wait_alu 0xfffe
	s_or_b32 exec_lo, exec_lo, s1
	global_wb scope:SCOPE_SE
	s_wait_dscnt 0x0
	s_barrier_signal -1
	s_barrier_wait -1
	global_inv scope:SCOPE_SE
	ds_load_b128 v[0:3], v20 offset:4480
	ds_load_b128 v[4:7], v20 offset:3584
	s_mov_b32 s2, 0xe8584caa
	s_mov_b32 s3, 0xbfebb67a
	;; [unrolled: 1-line block ×3, first 2 shown]
	s_wait_alu 0xfffe
	s_mov_b32 s10, s2
	s_mov_b32 s12, 0x134454ff
	;; [unrolled: 1-line block ×4, first 2 shown]
	s_wait_alu 0xfffe
	s_mov_b32 s14, s12
	s_mov_b32 s16, 0x372fe950
	;; [unrolled: 1-line block ×3, first 2 shown]
	s_wait_dscnt 0x1
	v_mul_f64_e32 v[8:9], v[62:63], v[2:3]
	s_delay_alu instid0(VALU_DEP_1) | instskip(SKIP_1) | instid1(VALU_DEP_1)
	v_fma_f64 v[12:13], v[60:61], v[0:1], v[8:9]
	v_mul_f64_e32 v[0:1], v[62:63], v[0:1]
	v_fma_f64 v[14:15], v[60:61], v[2:3], -v[0:1]
	ds_load_b128 v[0:3], v20 offset:5376
	ds_load_b128 v[8:11], v20 offset:6272
	s_wait_dscnt 0x1
	v_mul_f64_e32 v[16:17], v[62:63], v[2:3]
	s_delay_alu instid0(VALU_DEP_1) | instskip(SKIP_1) | instid1(VALU_DEP_1)
	v_fma_f64 v[21:22], v[60:61], v[0:1], v[16:17]
	v_mul_f64_e32 v[0:1], v[62:63], v[0:1]
	v_fma_f64 v[23:24], v[60:61], v[2:3], -v[0:1]
	s_wait_dscnt 0x0
	v_mul_f64_e32 v[0:1], v[62:63], v[10:11]
	s_delay_alu instid0(VALU_DEP_1) | instskip(SKIP_1) | instid1(VALU_DEP_1)
	v_fma_f64 v[33:34], v[60:61], v[8:9], v[0:1]
	v_mul_f64_e32 v[0:1], v[62:63], v[8:9]
	v_fma_f64 v[35:36], v[60:61], v[10:11], -v[0:1]
	ds_load_b128 v[0:3], v20 offset:7168
	ds_load_b128 v[8:11], v20 offset:8064
	s_wait_dscnt 0x1
	v_mul_f64_e32 v[16:17], v[62:63], v[2:3]
	s_delay_alu instid0(VALU_DEP_1) | instskip(SKIP_1) | instid1(VALU_DEP_1)
	v_fma_f64 v[37:38], v[60:61], v[0:1], v[16:17]
	v_mul_f64_e32 v[0:1], v[62:63], v[0:1]
	v_fma_f64 v[39:40], v[60:61], v[2:3], -v[0:1]
	;; [unrolled: 14-line block ×3, first 2 shown]
	s_wait_dscnt 0x0
	v_mul_f64_e32 v[0:1], v[58:59], v[10:11]
	s_delay_alu instid0(VALU_DEP_2) | instskip(NEXT) | instid1(VALU_DEP_2)
	v_add_f64_e32 v[27:28], v[14:15], v[18:19]
	v_fma_f64 v[50:51], v[56:57], v[8:9], v[0:1]
	v_mul_f64_e32 v[0:1], v[58:59], v[8:9]
	s_delay_alu instid0(VALU_DEP_1) | instskip(SKIP_4) | instid1(VALU_DEP_1)
	v_fma_f64 v[52:53], v[56:57], v[10:11], -v[0:1]
	ds_load_b128 v[0:3], v20 offset:10752
	ds_load_b128 v[8:11], v20 offset:11648
	s_wait_dscnt 0x1
	v_mul_f64_e32 v[25:26], v[58:59], v[2:3]
	v_fma_f64 v[60:61], v[56:57], v[0:1], v[25:26]
	v_mul_f64_e32 v[0:1], v[58:59], v[0:1]
	v_add_f64_e32 v[25:26], v[12:13], v[16:17]
	s_delay_alu instid0(VALU_DEP_2) | instskip(SKIP_2) | instid1(VALU_DEP_1)
	v_fma_f64 v[62:63], v[56:57], v[2:3], -v[0:1]
	s_wait_dscnt 0x0
	v_mul_f64_e32 v[0:1], v[58:59], v[10:11]
	v_fma_f64 v[64:65], v[56:57], v[8:9], v[0:1]
	v_mul_f64_e32 v[0:1], v[58:59], v[8:9]
	s_delay_alu instid0(VALU_DEP_1) | instskip(SKIP_3) | instid1(VALU_DEP_1)
	v_fma_f64 v[66:67], v[56:57], v[10:11], -v[0:1]
	ds_load_b128 v[0:3], v20 offset:12544
	s_wait_dscnt 0x0
	v_mul_f64_e32 v[8:9], v[58:59], v[2:3]
	v_fma_f64 v[76:77], v[56:57], v[0:1], v[8:9]
	v_mul_f64_e32 v[0:1], v[58:59], v[0:1]
	s_delay_alu instid0(VALU_DEP_1)
	v_fma_f64 v[56:57], v[56:57], v[2:3], -v[0:1]
	ds_load_b128 v[0:3], v20
	ds_load_b128 v[8:11], v20 offset:896
	s_wait_dscnt 0x1
	v_fma_f64 v[27:28], v[27:28], -0.5, v[2:3]
	v_add_f64_e32 v[2:3], v[2:3], v[14:15]
	v_fma_f64 v[25:26], v[25:26], -0.5, v[0:1]
	v_add_f64_e32 v[0:1], v[0:1], v[12:13]
	v_add_f64_e64 v[14:15], v[14:15], -v[18:19]
	s_delay_alu instid0(VALU_DEP_4) | instskip(SKIP_1) | instid1(VALU_DEP_4)
	v_add_f64_e32 v[2:3], v[2:3], v[18:19]
	v_add_f64_e64 v[18:19], v[12:13], -v[16:17]
	v_add_f64_e32 v[0:1], v[0:1], v[16:17]
	s_delay_alu instid0(VALU_DEP_4) | instskip(SKIP_1) | instid1(VALU_DEP_4)
	v_fma_f64 v[12:13], v[14:15], s[2:3], v[25:26]
	v_fma_f64 v[16:17], v[14:15], s[10:11], v[25:26]
	;; [unrolled: 1-line block ×4, first 2 shown]
	ds_load_b128 v[25:28], v20 offset:1792
	ds_load_b128 v[29:32], v20 offset:2688
	global_wb scope:SCOPE_SE
	s_wait_dscnt 0x0
	s_barrier_signal -1
	s_barrier_wait -1
	global_inv scope:SCOPE_SE
	scratch_load_b32 v41, off, off offset:368 th:TH_LOAD_LU ; 4-byte Folded Reload
	s_wait_loadcnt 0x0
	ds_store_b128 v41, v[0:3]
	ds_store_b128 v41, v[12:15] offset:128
	ds_store_b128 v41, v[16:19] offset:256
	v_add_f64_e32 v[0:1], v[21:22], v[50:51]
	v_add_f64_e64 v[16:17], v[21:22], -v[50:51]
	s_delay_alu instid0(VALU_DEP_2) | instskip(SKIP_2) | instid1(VALU_DEP_2)
	v_fma_f64 v[12:13], v[0:1], -0.5, v[8:9]
	v_add_f64_e32 v[0:1], v[23:24], v[52:53]
	v_add_f64_e32 v[8:9], v[8:9], v[21:22]
	v_fma_f64 v[14:15], v[0:1], -0.5, v[10:11]
	v_add_f64_e32 v[0:1], v[10:11], v[23:24]
	v_add_f64_e64 v[10:11], v[23:24], -v[52:53]
	s_delay_alu instid0(VALU_DEP_2) | instskip(SKIP_1) | instid1(VALU_DEP_3)
	v_add_f64_e32 v[2:3], v[0:1], v[52:53]
	v_add_f64_e32 v[0:1], v[8:9], v[50:51]
	v_fma_f64 v[8:9], v[10:11], s[2:3], v[12:13]
	v_fma_f64 v[12:13], v[10:11], s[10:11], v[12:13]
	;; [unrolled: 1-line block ×4, first 2 shown]
	scratch_load_b32 v16, off, off offset:364 th:TH_LOAD_LU ; 4-byte Folded Reload
	s_wait_loadcnt 0x0
	ds_store_b128 v16, v[0:3]
	ds_store_b128 v16, v[8:11] offset:128
	ds_store_b128 v16, v[12:15] offset:256
	v_add_f64_e32 v[0:1], v[33:34], v[60:61]
	v_add_f64_e32 v[8:9], v[25:26], v[33:34]
	v_add_f64_e64 v[12:13], v[35:36], -v[62:63]
	v_add_f64_e64 v[16:17], v[33:34], -v[60:61]
	s_delay_alu instid0(VALU_DEP_4) | instskip(SKIP_1) | instid1(VALU_DEP_1)
	v_fma_f64 v[10:11], v[0:1], -0.5, v[25:26]
	v_add_f64_e32 v[0:1], v[35:36], v[62:63]
	v_fma_f64 v[14:15], v[0:1], -0.5, v[27:28]
	v_add_f64_e32 v[0:1], v[27:28], v[35:36]
	s_delay_alu instid0(VALU_DEP_1)
	v_add_f64_e32 v[2:3], v[0:1], v[62:63]
	v_add_f64_e32 v[0:1], v[8:9], v[60:61]
	v_fma_f64 v[8:9], v[12:13], s[2:3], v[10:11]
	v_fma_f64 v[12:13], v[12:13], s[10:11], v[10:11]
	;; [unrolled: 1-line block ×4, first 2 shown]
	scratch_load_b32 v16, off, off offset:360 th:TH_LOAD_LU ; 4-byte Folded Reload
	s_wait_loadcnt 0x0
	ds_store_b128 v16, v[0:3]
	ds_store_b128 v16, v[8:11] offset:128
	ds_store_b128 v16, v[12:15] offset:256
	v_add_f64_e32 v[0:1], v[37:38], v[64:65]
	v_add_f64_e32 v[8:9], v[29:30], v[37:38]
	v_add_f64_e64 v[12:13], v[39:40], -v[66:67]
	v_add_f64_e64 v[16:17], v[37:38], -v[64:65]
	s_delay_alu instid0(VALU_DEP_4) | instskip(SKIP_1) | instid1(VALU_DEP_1)
	v_fma_f64 v[10:11], v[0:1], -0.5, v[29:30]
	v_add_f64_e32 v[0:1], v[39:40], v[66:67]
	v_fma_f64 v[14:15], v[0:1], -0.5, v[31:32]
	v_add_f64_e32 v[0:1], v[31:32], v[39:40]
	s_delay_alu instid0(VALU_DEP_1)
	v_add_f64_e32 v[2:3], v[0:1], v[66:67]
	v_add_f64_e32 v[0:1], v[8:9], v[64:65]
	v_fma_f64 v[8:9], v[12:13], s[2:3], v[10:11]
	v_fma_f64 v[12:13], v[12:13], s[10:11], v[10:11]
	;; [unrolled: 1-line block ×4, first 2 shown]
	scratch_load_b32 v16, off, off offset:356 th:TH_LOAD_LU ; 4-byte Folded Reload
	s_wait_loadcnt 0x0
	ds_store_b128 v16, v[0:3]
	ds_store_b128 v16, v[8:11] offset:128
	ds_store_b128 v16, v[12:15] offset:256
	v_add_f64_e32 v[0:1], v[46:47], v[76:77]
	v_add_f64_e64 v[12:13], v[46:47], -v[76:77]
	s_delay_alu instid0(VALU_DEP_2) | instskip(SKIP_2) | instid1(VALU_DEP_2)
	v_fma_f64 v[8:9], v[0:1], -0.5, v[4:5]
	v_add_f64_e32 v[0:1], v[48:49], v[56:57]
	v_add_f64_e32 v[4:5], v[4:5], v[46:47]
	v_fma_f64 v[10:11], v[0:1], -0.5, v[6:7]
	v_add_f64_e32 v[0:1], v[6:7], v[48:49]
	v_add_f64_e64 v[6:7], v[48:49], -v[56:57]
	s_delay_alu instid0(VALU_DEP_2) | instskip(SKIP_1) | instid1(VALU_DEP_3)
	v_add_f64_e32 v[2:3], v[0:1], v[56:57]
	v_add_f64_e32 v[0:1], v[4:5], v[76:77]
	v_fma_f64 v[4:5], v[6:7], s[2:3], v[8:9]
	v_fma_f64 v[8:9], v[6:7], s[10:11], v[8:9]
	;; [unrolled: 1-line block ×4, first 2 shown]
	scratch_load_b32 v12, off, off offset:348 th:TH_LOAD_LU ; 4-byte Folded Reload
	s_mov_b32 s2, 0x4755a5e
	s_mov_b32 s3, 0xbfe2cf23
	;; [unrolled: 1-line block ×3, first 2 shown]
	s_wait_alu 0xfffe
	s_mov_b32 s10, s2
	s_wait_loadcnt 0x0
	ds_store_b128 v12, v[0:3]
	ds_store_b128 v12, v[4:7] offset:128
	ds_store_b128 v12, v[8:11] offset:256
	global_wb scope:SCOPE_SE
	s_wait_dscnt 0x0
	s_barrier_signal -1
	s_barrier_wait -1
	global_inv scope:SCOPE_SE
	ds_load_b128 v[56:59], v20 offset:2688
	ds_load_b128 v[0:3], v20 offset:1792
	s_wait_dscnt 0x1
	v_mul_f64_e32 v[4:5], v[70:71], v[58:59]
	s_delay_alu instid0(VALU_DEP_1) | instskip(SKIP_1) | instid1(VALU_DEP_1)
	v_fma_f64 v[21:22], v[68:69], v[56:57], v[4:5]
	v_mul_f64_e32 v[4:5], v[70:71], v[56:57]
	v_fma_f64 v[23:24], v[68:69], v[58:59], -v[4:5]
	ds_load_b128 v[4:7], v20 offset:5376
	ds_load_b128 v[8:11], v20 offset:6272
	scratch_load_b128 v[14:17], off, off offset:248 th:TH_LOAD_LU ; 16-byte Folded Reload
	s_wait_loadcnt_dscnt 0x1
	v_mul_f64_e32 v[12:13], v[16:17], v[6:7]
	s_delay_alu instid0(VALU_DEP_1) | instskip(SKIP_1) | instid1(VALU_DEP_1)
	v_fma_f64 v[29:30], v[14:15], v[4:5], v[12:13]
	v_mul_f64_e32 v[4:5], v[16:17], v[4:5]
	v_fma_f64 v[31:32], v[14:15], v[6:7], -v[4:5]
	ds_load_b128 v[4:7], v20 offset:10752
	ds_load_b128 v[12:15], v20 offset:11648
	s_wait_dscnt 0x1
	v_mul_f64_e32 v[16:17], v[110:111], v[6:7]
	s_delay_alu instid0(VALU_DEP_1) | instskip(SKIP_1) | instid1(VALU_DEP_2)
	v_fma_f64 v[33:34], v[108:109], v[4:5], v[16:17]
	v_mul_f64_e32 v[4:5], v[110:111], v[4:5]
	v_add_f64_e64 v[90:91], v[21:22], -v[33:34]
	s_delay_alu instid0(VALU_DEP_2)
	v_fma_f64 v[35:36], v[108:109], v[6:7], -v[4:5]
	ds_load_b128 v[4:7], v20 offset:8064
	ds_load_b128 v[16:19], v20 offset:7168
	s_wait_dscnt 0x1
	v_mul_f64_e32 v[25:26], v[106:107], v[6:7]
	v_add_f64_e64 v[86:87], v[23:24], -v[35:36]
	s_delay_alu instid0(VALU_DEP_2) | instskip(SKIP_1) | instid1(VALU_DEP_2)
	v_fma_f64 v[37:38], v[104:105], v[4:5], v[25:26]
	v_mul_f64_e32 v[4:5], v[106:107], v[4:5]
	v_add_f64_e64 v[88:89], v[29:30], -v[37:38]
	s_delay_alu instid0(VALU_DEP_2)
	v_fma_f64 v[39:40], v[104:105], v[6:7], -v[4:5]
	ds_load_b128 v[4:7], v20 offset:3584
	ds_load_b128 v[25:28], v20 offset:4480
	s_wait_dscnt 0x1
	v_mul_f64_e32 v[46:47], v[122:123], v[6:7]
	v_add_f64_e64 v[84:85], v[31:32], -v[39:40]
	s_delay_alu instid0(VALU_DEP_2) | instskip(SKIP_1) | instid1(VALU_DEP_1)
	v_fma_f64 v[46:47], v[120:121], v[4:5], v[46:47]
	v_mul_f64_e32 v[4:5], v[122:123], v[4:5]
	v_fma_f64 v[48:49], v[120:121], v[6:7], -v[4:5]
	v_mul_f64_e32 v[4:5], v[114:115], v[10:11]
	s_delay_alu instid0(VALU_DEP_1) | instskip(SKIP_1) | instid1(VALU_DEP_1)
	v_fma_f64 v[50:51], v[112:113], v[8:9], v[4:5]
	v_mul_f64_e32 v[4:5], v[114:115], v[8:9]
	v_fma_f64 v[52:53], v[112:113], v[10:11], -v[4:5]
	ds_load_b128 v[4:7], v20 offset:8960
	ds_load_b128 v[8:11], v20 offset:9856
	s_wait_dscnt 0x1
	v_mul_f64_e32 v[56:57], v[126:127], v[6:7]
	s_delay_alu instid0(VALU_DEP_1) | instskip(SKIP_1) | instid1(VALU_DEP_1)
	v_fma_f64 v[56:57], v[124:125], v[4:5], v[56:57]
	v_mul_f64_e32 v[4:5], v[126:127], v[4:5]
	v_fma_f64 v[58:59], v[124:125], v[6:7], -v[4:5]
	v_mul_f64_e32 v[4:5], v[118:119], v[14:15]
	s_delay_alu instid0(VALU_DEP_1) | instskip(SKIP_2) | instid1(VALU_DEP_2)
	v_fma_f64 v[60:61], v[116:117], v[12:13], v[4:5]
	v_mul_f64_e32 v[4:5], v[118:119], v[12:13]
	v_add_f64_e32 v[12:13], v[21:22], v[33:34]
	v_fma_f64 v[62:63], v[116:117], v[14:15], -v[4:5]
	v_mul_f64_e32 v[4:5], v[138:139], v[27:28]
	s_delay_alu instid0(VALU_DEP_1) | instskip(SKIP_1) | instid1(VALU_DEP_1)
	v_fma_f64 v[64:65], v[136:137], v[25:26], v[4:5]
	v_mul_f64_e32 v[4:5], v[138:139], v[25:26]
	v_fma_f64 v[66:67], v[136:137], v[27:28], -v[4:5]
	v_mul_f64_e32 v[4:5], v[130:131], v[18:19]
	s_delay_alu instid0(VALU_DEP_1) | instskip(SKIP_1) | instid1(VALU_DEP_1)
	v_fma_f64 v[68:69], v[128:129], v[16:17], v[4:5]
	v_mul_f64_e32 v[4:5], v[130:131], v[16:17]
	v_fma_f64 v[70:71], v[128:129], v[18:19], -v[4:5]
	s_wait_dscnt 0x0
	v_mul_f64_e32 v[4:5], v[142:143], v[10:11]
	s_delay_alu instid0(VALU_DEP_1) | instskip(SKIP_1) | instid1(VALU_DEP_1)
	v_fma_f64 v[76:77], v[140:141], v[8:9], v[4:5]
	v_mul_f64_e32 v[4:5], v[142:143], v[8:9]
	v_fma_f64 v[78:79], v[140:141], v[10:11], -v[4:5]
	ds_load_b128 v[4:7], v20 offset:12544
	s_wait_dscnt 0x0
	v_mul_f64_e32 v[8:9], v[134:135], v[6:7]
	s_delay_alu instid0(VALU_DEP_1) | instskip(SKIP_1) | instid1(VALU_DEP_1)
	v_fma_f64 v[80:81], v[132:133], v[4:5], v[8:9]
	v_mul_f64_e32 v[4:5], v[134:135], v[4:5]
	v_fma_f64 v[82:83], v[132:133], v[6:7], -v[4:5]
	v_add_f64_e64 v[4:5], v[29:30], -v[21:22]
	v_add_f64_e64 v[6:7], v[37:38], -v[33:34]
	s_delay_alu instid0(VALU_DEP_1) | instskip(SKIP_2) | instid1(VALU_DEP_1)
	v_add_f64_e32 v[16:17], v[4:5], v[6:7]
	v_add_f64_e64 v[4:5], v[31:32], -v[23:24]
	v_add_f64_e64 v[6:7], v[39:40], -v[35:36]
	v_add_f64_e32 v[18:19], v[4:5], v[6:7]
	ds_load_b128 v[4:7], v20
	ds_load_b128 v[8:11], v20 offset:896
	global_wb scope:SCOPE_SE
	s_wait_dscnt 0x0
	s_barrier_signal -1
	s_barrier_wait -1
	global_inv scope:SCOPE_SE
	v_fma_f64 v[25:26], v[12:13], -0.5, v[4:5]
	v_add_f64_e32 v[12:13], v[23:24], v[35:36]
	s_delay_alu instid0(VALU_DEP_1) | instskip(NEXT) | instid1(VALU_DEP_3)
	v_fma_f64 v[27:28], v[12:13], -0.5, v[6:7]
	v_fma_f64 v[12:13], v[84:85], s[14:15], v[25:26]
	v_fma_f64 v[25:26], v[84:85], s[12:13], v[25:26]
	s_delay_alu instid0(VALU_DEP_3) | instskip(NEXT) | instid1(VALU_DEP_3)
	v_fma_f64 v[14:15], v[88:89], s[12:13], v[27:28]
	v_fma_f64 v[12:13], v[86:87], s[2:3], v[12:13]
	s_wait_alu 0xfffe
	s_delay_alu instid0(VALU_DEP_3) | instskip(SKIP_1) | instid1(VALU_DEP_4)
	v_fma_f64 v[25:26], v[86:87], s[10:11], v[25:26]
	v_fma_f64 v[27:28], v[88:89], s[14:15], v[27:28]
	;; [unrolled: 1-line block ×3, first 2 shown]
	s_delay_alu instid0(VALU_DEP_4) | instskip(NEXT) | instid1(VALU_DEP_4)
	v_fma_f64 v[12:13], v[16:17], s[16:17], v[12:13]
	v_fma_f64 v[16:17], v[16:17], s[16:17], v[25:26]
	v_add_f64_e32 v[25:26], v[29:30], v[37:38]
	v_fma_f64 v[27:28], v[90:91], s[2:3], v[27:28]
	v_fma_f64 v[14:15], v[18:19], s[16:17], v[14:15]
	s_delay_alu instid0(VALU_DEP_3) | instskip(SKIP_1) | instid1(VALU_DEP_4)
	v_fma_f64 v[25:26], v[25:26], -0.5, v[4:5]
	v_add_f64_e32 v[4:5], v[4:5], v[21:22]
	v_fma_f64 v[18:19], v[18:19], s[16:17], v[27:28]
	v_add_f64_e32 v[27:28], v[31:32], v[39:40]
	v_add_f64_e64 v[21:22], v[21:22], -v[29:30]
	s_delay_alu instid0(VALU_DEP_4) | instskip(SKIP_1) | instid1(VALU_DEP_4)
	v_add_f64_e32 v[4:5], v[4:5], v[29:30]
	v_add_f64_e64 v[29:30], v[33:34], -v[37:38]
	v_fma_f64 v[27:28], v[27:28], -0.5, v[6:7]
	v_add_f64_e32 v[6:7], v[6:7], v[23:24]
	v_add_f64_e64 v[23:24], v[23:24], -v[31:32]
	v_add_f64_e32 v[4:5], v[4:5], v[37:38]
	v_add_f64_e32 v[21:22], v[21:22], v[29:30]
	s_delay_alu instid0(VALU_DEP_4) | instskip(SKIP_1) | instid1(VALU_DEP_4)
	v_add_f64_e32 v[6:7], v[6:7], v[31:32]
	v_add_f64_e64 v[31:32], v[35:36], -v[39:40]
	v_add_f64_e32 v[4:5], v[4:5], v[33:34]
	v_fma_f64 v[33:34], v[86:87], s[12:13], v[25:26]
	v_fma_f64 v[25:26], v[86:87], s[14:15], v[25:26]
	v_add_f64_e32 v[6:7], v[6:7], v[39:40]
	v_add_f64_e32 v[23:24], v[23:24], v[31:32]
	v_add_f64_e64 v[40:41], v[66:67], -v[82:83]
	v_fma_f64 v[29:30], v[84:85], s[2:3], v[33:34]
	v_fma_f64 v[31:32], v[84:85], s[10:11], v[25:26]
	v_add_f64_e32 v[6:7], v[6:7], v[35:36]
	v_fma_f64 v[35:36], v[90:91], s[14:15], v[27:28]
	v_fma_f64 v[27:28], v[90:91], s[12:13], v[27:28]
	;; [unrolled: 1-line block ×4, first 2 shown]
	scratch_load_b32 v21, off, off offset:372 th:TH_LOAD_LU ; 4-byte Folded Reload
	v_fma_f64 v[33:34], v[88:89], s[10:11], v[35:36]
	v_fma_f64 v[35:36], v[88:89], s[2:3], v[27:28]
	s_delay_alu instid0(VALU_DEP_2) | instskip(NEXT) | instid1(VALU_DEP_2)
	v_fma_f64 v[27:28], v[23:24], s[16:17], v[33:34]
	v_fma_f64 v[31:32], v[23:24], s[16:17], v[35:36]
	v_add_f64_e64 v[23:24], v[52:53], -v[58:59]
	v_add_f64_e64 v[33:34], v[56:57], -v[60:61]
	;; [unrolled: 1-line block ×3, first 2 shown]
	s_wait_loadcnt 0x0
	ds_store_b128 v21, v[4:7]
	ds_store_b128 v21, v[25:28] offset:384
	ds_store_b128 v21, v[12:15] offset:768
	;; [unrolled: 1-line block ×4, first 2 shown]
	v_add_f64_e64 v[4:5], v[46:47], -v[50:51]
	v_add_f64_e64 v[6:7], v[60:61], -v[56:57]
	;; [unrolled: 1-line block ×7, first 2 shown]
	v_add_f64_e32 v[12:13], v[4:5], v[6:7]
	v_add_f64_e64 v[4:5], v[48:49], -v[52:53]
	v_add_f64_e64 v[6:7], v[62:63], -v[58:59]
	s_delay_alu instid0(VALU_DEP_1) | instskip(SKIP_1) | instid1(VALU_DEP_1)
	v_add_f64_e32 v[14:15], v[4:5], v[6:7]
	v_add_f64_e32 v[4:5], v[50:51], v[56:57]
	v_fma_f64 v[16:17], v[4:5], -0.5, v[8:9]
	v_add_f64_e32 v[4:5], v[52:53], v[58:59]
	s_delay_alu instid0(VALU_DEP_1) | instskip(NEXT) | instid1(VALU_DEP_3)
	v_fma_f64 v[18:19], v[4:5], -0.5, v[10:11]
	v_fma_f64 v[4:5], v[21:22], s[12:13], v[16:17]
	v_fma_f64 v[16:17], v[21:22], s[14:15], v[16:17]
	s_delay_alu instid0(VALU_DEP_3) | instskip(SKIP_1) | instid1(VALU_DEP_4)
	v_fma_f64 v[6:7], v[25:26], s[14:15], v[18:19]
	v_fma_f64 v[18:19], v[25:26], s[12:13], v[18:19]
	v_fma_f64 v[4:5], v[23:24], s[2:3], v[4:5]
	s_delay_alu instid0(VALU_DEP_4) | instskip(NEXT) | instid1(VALU_DEP_4)
	v_fma_f64 v[16:17], v[23:24], s[10:11], v[16:17]
	v_fma_f64 v[6:7], v[27:28], s[10:11], v[6:7]
	s_delay_alu instid0(VALU_DEP_4) | instskip(NEXT) | instid1(VALU_DEP_4)
	v_fma_f64 v[18:19], v[27:28], s[2:3], v[18:19]
	v_fma_f64 v[4:5], v[12:13], s[16:17], v[4:5]
	s_delay_alu instid0(VALU_DEP_4) | instskip(SKIP_4) | instid1(VALU_DEP_4)
	v_fma_f64 v[12:13], v[12:13], s[16:17], v[16:17]
	v_add_f64_e32 v[16:17], v[46:47], v[60:61]
	v_fma_f64 v[6:7], v[14:15], s[16:17], v[6:7]
	v_fma_f64 v[14:15], v[14:15], s[16:17], v[18:19]
	v_add_f64_e32 v[18:19], v[48:49], v[62:63]
	v_fma_f64 v[16:17], v[16:17], -0.5, v[8:9]
	v_add_f64_e32 v[8:9], v[8:9], v[46:47]
	v_add_f64_e64 v[46:47], v[68:69], -v[76:77]
	s_delay_alu instid0(VALU_DEP_4)
	v_fma_f64 v[18:19], v[18:19], -0.5, v[10:11]
	v_add_f64_e32 v[10:11], v[10:11], v[48:49]
	v_fma_f64 v[37:38], v[23:24], s[14:15], v[16:17]
	v_fma_f64 v[16:17], v[23:24], s[12:13], v[16:17]
	v_add_f64_e32 v[8:9], v[8:9], v[50:51]
	v_add_f64_e64 v[48:49], v[64:65], -v[80:81]
	v_add_f64_e64 v[50:51], v[64:65], -v[68:69]
	v_fma_f64 v[23:24], v[27:28], s[12:13], v[18:19]
	v_fma_f64 v[18:19], v[27:28], s[14:15], v[18:19]
	v_add_f64_e32 v[27:28], v[29:30], v[33:34]
	v_add_f64_e32 v[29:30], v[31:32], v[35:36]
	v_fma_f64 v[31:32], v[21:22], s[2:3], v[37:38]
	v_fma_f64 v[21:22], v[21:22], s[10:11], v[16:17]
	v_add_f64_e32 v[10:11], v[10:11], v[52:53]
	v_add_f64_e32 v[8:9], v[8:9], v[56:57]
	v_add_f64_e64 v[38:39], v[70:71], -v[78:79]
	v_add_f64_e64 v[52:53], v[66:67], -v[70:71]
	;; [unrolled: 1-line block ×3, first 2 shown]
	v_fma_f64 v[23:24], v[25:26], s[10:11], v[23:24]
	v_fma_f64 v[33:34], v[25:26], s[2:3], v[18:19]
	;; [unrolled: 1-line block ×3, first 2 shown]
	v_add_f64_e32 v[10:11], v[10:11], v[58:59]
	v_add_f64_e32 v[8:9], v[8:9], v[60:61]
	v_add_f64_e64 v[58:59], v[82:83], -v[78:79]
	v_fma_f64 v[18:19], v[29:30], s[16:17], v[23:24]
	v_fma_f64 v[24:25], v[27:28], s[16:17], v[21:22]
	;; [unrolled: 1-line block ×3, first 2 shown]
	v_add_f64_e64 v[21:22], v[68:69], -v[64:65]
	v_add_f64_e64 v[28:29], v[76:77], -v[80:81]
	;; [unrolled: 1-line block ×3, first 2 shown]
	v_add_f64_e32 v[10:11], v[10:11], v[62:63]
	ds_store_b128 v55, v[8:11]
	ds_store_b128 v55, v[4:7] offset:384
	ds_store_b128 v55, v[16:19] offset:768
	;; [unrolled: 1-line block ×4, first 2 shown]
	v_add_f64_e32 v[21:22], v[21:22], v[28:29]
	v_add_f64_e64 v[28:29], v[70:71], -v[66:67]
	scratch_load_b32 v4, off, off offset:352 th:TH_LOAD_LU ; 4-byte Folded Reload
	v_add_f64_e32 v[34:35], v[28:29], v[30:31]
	v_add_f64_e32 v[28:29], v[64:65], v[80:81]
	s_delay_alu instid0(VALU_DEP_1) | instskip(SKIP_1) | instid1(VALU_DEP_1)
	v_fma_f64 v[32:33], v[28:29], -0.5, v[0:1]
	v_add_f64_e32 v[28:29], v[66:67], v[82:83]
	v_fma_f64 v[36:37], v[28:29], -0.5, v[2:3]
	s_delay_alu instid0(VALU_DEP_3) | instskip(SKIP_1) | instid1(VALU_DEP_3)
	v_fma_f64 v[28:29], v[38:39], s[14:15], v[32:33]
	v_fma_f64 v[32:33], v[38:39], s[12:13], v[32:33]
	;; [unrolled: 1-line block ×4, first 2 shown]
	s_delay_alu instid0(VALU_DEP_4) | instskip(NEXT) | instid1(VALU_DEP_4)
	v_fma_f64 v[28:29], v[40:41], s[2:3], v[28:29]
	v_fma_f64 v[32:33], v[40:41], s[10:11], v[32:33]
	s_delay_alu instid0(VALU_DEP_4) | instskip(NEXT) | instid1(VALU_DEP_4)
	v_fma_f64 v[30:31], v[48:49], s[10:11], v[30:31]
	v_fma_f64 v[36:37], v[48:49], s[2:3], v[36:37]
	;; [unrolled: 3-line block ×3, first 2 shown]
	v_add_f64_e32 v[21:22], v[68:69], v[76:77]
	v_fma_f64 v[30:31], v[34:35], s[16:17], v[30:31]
	v_fma_f64 v[34:35], v[34:35], s[16:17], v[36:37]
	v_add_f64_e32 v[36:37], v[70:71], v[78:79]
	s_delay_alu instid0(VALU_DEP_4) | instskip(SKIP_1) | instid1(VALU_DEP_3)
	v_fma_f64 v[21:22], v[21:22], -0.5, v[0:1]
	v_add_f64_e32 v[0:1], v[0:1], v[64:65]
	v_fma_f64 v[36:37], v[36:37], -0.5, v[2:3]
	v_add_f64_e32 v[2:3], v[2:3], v[66:67]
	s_delay_alu instid0(VALU_DEP_4) | instskip(NEXT) | instid1(VALU_DEP_4)
	v_fma_f64 v[60:61], v[40:41], s[12:13], v[21:22]
	v_add_f64_e32 v[0:1], v[0:1], v[68:69]
	v_fma_f64 v[21:22], v[40:41], s[14:15], v[21:22]
	v_fma_f64 v[40:41], v[48:49], s[14:15], v[36:37]
	v_add_f64_e32 v[2:3], v[2:3], v[70:71]
	v_fma_f64 v[36:37], v[48:49], s[12:13], v[36:37]
	v_add_f64_e32 v[0:1], v[0:1], v[76:77]
	v_add_f64_e32 v[48:49], v[50:51], v[56:57]
	;; [unrolled: 1-line block ×3, first 2 shown]
	v_fma_f64 v[52:53], v[38:39], s[2:3], v[60:61]
	v_fma_f64 v[21:22], v[38:39], s[10:11], v[21:22]
	;; [unrolled: 1-line block ×3, first 2 shown]
	v_add_f64_e32 v[2:3], v[2:3], v[78:79]
	v_fma_f64 v[40:41], v[46:47], s[2:3], v[36:37]
	v_add_f64_e32 v[0:1], v[0:1], v[80:81]
	v_fma_f64 v[36:37], v[48:49], s[16:17], v[52:53]
	v_fma_f64 v[56:57], v[48:49], s[16:17], v[21:22]
	;; [unrolled: 1-line block ×3, first 2 shown]
	v_add_f64_e32 v[2:3], v[2:3], v[82:83]
	v_fma_f64 v[58:59], v[50:51], s[16:17], v[40:41]
	s_wait_loadcnt 0x0
	ds_store_b128 v4, v[0:3]
	ds_store_b128 v4, v[36:39] offset:384
	ds_store_b128 v4, v[28:31] offset:768
	ds_store_b128 v4, v[32:35] offset:1152
	ds_store_b128 v4, v[56:59] offset:1536
	global_wb scope:SCOPE_SE
	s_wait_dscnt 0x0
	s_barrier_signal -1
	s_barrier_wait -1
	global_inv scope:SCOPE_SE
	ds_load_b128 v[64:67], v20
	ds_load_b128 v[60:63], v20 offset:896
	ds_load_b128 v[128:131], v20 offset:1920
	;; [unrolled: 1-line block ×13, first 2 shown]
	s_and_saveexec_b32 s1, s0
	s_cbranch_execz .LBB0_35
; %bb.34:
	ds_load_b128 v[56:59], v20 offset:1792
	ds_load_b128 v[72:75], v20 offset:3712
	;; [unrolled: 1-line block ×7, first 2 shown]
.LBB0_35:
	s_wait_alu 0xfffe
	s_or_b32 exec_lo, exec_lo, s1
	s_wait_dscnt 0xb
	v_mul_f64_e32 v[0:1], v[146:147], v[130:131]
	v_mul_f64_e32 v[2:3], v[146:147], v[128:129]
	s_wait_dscnt 0x9
	v_mul_f64_e32 v[4:5], v[150:151], v[134:135]
	v_mul_f64_e32 v[6:7], v[150:151], v[132:133]
	s_wait_dscnt 0x1
	v_mul_f64_e32 v[8:9], v[154:155], v[142:143]
	v_mul_f64_e32 v[10:11], v[154:155], v[140:141]
	v_mul_f64_e32 v[12:13], v[158:159], v[138:139]
	v_mul_f64_e32 v[14:15], v[158:159], v[136:137]
	;; [unrolled: 1-line block ×6, first 2 shown]
	s_wait_dscnt 0x0
	v_mul_f64_e32 v[25:26], v[170:171], v[126:127]
	v_mul_f64_e32 v[27:28], v[170:171], v[124:125]
	;; [unrolled: 1-line block ×12, first 2 shown]
	s_mov_b32 s14, 0x37e14327
	s_mov_b32 s16, 0xe976ee23
	;; [unrolled: 1-line block ×14, first 2 shown]
	v_fma_f64 v[0:1], v[144:145], v[128:129], v[0:1]
	v_fma_f64 v[2:3], v[144:145], v[130:131], -v[2:3]
	v_fma_f64 v[4:5], v[148:149], v[132:133], v[4:5]
	v_fma_f64 v[6:7], v[148:149], v[134:135], -v[6:7]
	;; [unrolled: 2-line block ×12, first 2 shown]
	s_mov_b32 s21, 0xbfe77f67
	s_mov_b32 s25, 0x3fd5d0dc
	s_wait_alu 0xfffe
	s_mov_b32 s20, s18
	s_mov_b32 s24, s22
	;; [unrolled: 1-line block ×4, first 2 shown]
	v_add_f64_e32 v[54:55], v[0:1], v[8:9]
	v_add_f64_e32 v[80:81], v[2:3], v[10:11]
	;; [unrolled: 1-line block ×4, first 2 shown]
	v_add_f64_e64 v[4:5], v[4:5], -v[12:13]
	v_add_f64_e64 v[6:7], v[6:7], -v[14:15]
	;; [unrolled: 1-line block ×4, first 2 shown]
	v_add_f64_e32 v[68:69], v[16:17], v[25:26]
	v_add_f64_e32 v[70:71], v[18:19], v[27:28]
	;; [unrolled: 1-line block ×4, first 2 shown]
	v_add_f64_e64 v[21:22], v[21:22], -v[29:30]
	v_add_f64_e64 v[23:24], v[23:24], -v[31:32]
	v_add_f64_e32 v[86:87], v[33:34], v[37:38]
	v_add_f64_e32 v[88:89], v[35:36], v[39:40]
	v_add_f64_e64 v[12:13], v[37:38], -v[33:34]
	v_add_f64_e64 v[14:15], v[39:40], -v[35:36]
	v_add_f64_e32 v[29:30], v[46:47], v[50:51]
	v_add_f64_e32 v[31:32], v[48:49], v[52:53]
	v_add_f64_e64 v[33:34], v[50:51], -v[46:47]
	v_add_f64_e64 v[35:36], v[52:53], -v[48:49]
	;; [unrolled: 1-line block ×4, first 2 shown]
	v_add_f64_e32 v[0:1], v[82:83], v[54:55]
	v_add_f64_e32 v[2:3], v[84:85], v[80:81]
	v_add_f64_e64 v[90:91], v[4:5], -v[8:9]
	v_add_f64_e64 v[92:93], v[6:7], -v[10:11]
	v_add_f64_e32 v[25:26], v[76:77], v[68:69]
	v_add_f64_e32 v[27:28], v[78:79], v[70:71]
	v_add_f64_e64 v[37:38], v[54:55], -v[86:87]
	v_add_f64_e64 v[39:40], v[80:81], -v[88:89]
	;; [unrolled: 1-line block ×14, first 2 shown]
	v_add_f64_e32 v[82:83], v[12:13], v[4:5]
	v_add_f64_e32 v[84:85], v[14:15], v[6:7]
	v_add_f64_e64 v[12:13], v[8:9], -v[12:13]
	v_add_f64_e64 v[14:15], v[10:11], -v[14:15]
	v_add_f64_e32 v[21:22], v[33:34], v[21:22]
	v_add_f64_e32 v[23:24], v[35:36], v[23:24]
	v_add_f64_e64 v[33:34], v[16:17], -v[33:34]
	v_add_f64_e64 v[35:36], v[18:19], -v[35:36]
	v_add_f64_e32 v[86:87], v[86:87], v[0:1]
	v_add_f64_e32 v[88:89], v[88:89], v[2:3]
	v_mul_f64_e32 v[110:111], s[2:3], v[90:91]
	v_mul_f64_e32 v[112:113], s[2:3], v[92:93]
	v_add_f64_e32 v[25:26], v[29:30], v[25:26]
	v_add_f64_e32 v[27:28], v[31:32], v[27:28]
	v_add_f64_e64 v[29:30], v[29:30], -v[76:77]
	v_add_f64_e64 v[31:32], v[31:32], -v[78:79]
	v_mul_f64_e32 v[37:38], s[14:15], v[37:38]
	v_mul_f64_e32 v[39:40], s[14:15], v[39:40]
	;; [unrolled: 1-line block ×6, first 2 shown]
	v_add_f64_e32 v[8:9], v[82:83], v[8:9]
	v_add_f64_e32 v[10:11], v[84:85], v[10:11]
	;; [unrolled: 1-line block ×6, first 2 shown]
	v_mul_f64_e32 v[64:65], s[14:15], v[94:95]
	v_mul_f64_e32 v[66:67], s[14:15], v[96:97]
	v_mul_f64_e32 v[94:95], s[16:17], v[98:99]
	v_mul_f64_e32 v[96:97], s[16:17], v[100:101]
	v_mul_f64_e32 v[98:99], s[2:3], v[102:103]
	v_mul_f64_e32 v[100:101], s[2:3], v[104:105]
	v_add_f64_e32 v[4:5], v[60:61], v[25:26]
	v_add_f64_e32 v[6:7], v[62:63], v[27:28]
	v_add_f64_e64 v[60:61], v[76:77], -v[68:69]
	v_add_f64_e64 v[62:63], v[78:79], -v[70:71]
	v_mul_f64_e32 v[68:69], s[10:11], v[29:30]
	v_mul_f64_e32 v[70:71], s[10:11], v[31:32]
	v_fma_f64 v[21:22], v[46:47], s[10:11], v[37:38]
	v_fma_f64 v[23:24], v[48:49], s[10:11], v[39:40]
	;; [unrolled: 1-line block ×4, first 2 shown]
	v_fma_f64 v[46:47], v[54:55], s[18:19], -v[106:107]
	v_fma_f64 v[48:49], v[80:81], s[18:19], -v[108:109]
	s_wait_alu 0xfffe
	v_fma_f64 v[14:15], v[14:15], s[24:25], -v[112:113]
	v_fma_f64 v[37:38], v[54:55], s[20:21], -v[37:38]
	;; [unrolled: 1-line block ×6, first 2 shown]
	v_fma_f64 v[82:83], v[86:87], s[12:13], v[0:1]
	v_fma_f64 v[84:85], v[88:89], s[12:13], v[2:3]
	;; [unrolled: 1-line block ×6, first 2 shown]
	v_fma_f64 v[88:89], v[104:105], s[2:3], -v[96:97]
	v_fma_f64 v[86:87], v[102:103], s[2:3], -v[94:95]
	v_fma_f64 v[25:26], v[25:26], s[12:13], v[4:5]
	v_fma_f64 v[27:28], v[27:28], s[12:13], v[6:7]
	v_fma_f64 v[33:34], v[33:34], s[24:25], -v[98:99]
	v_fma_f64 v[35:36], v[35:36], s[24:25], -v[100:101]
	v_fma_f64 v[64:65], v[60:61], s[20:21], -v[64:65]
	v_fma_f64 v[66:67], v[62:63], s[20:21], -v[66:67]
	v_fma_f64 v[60:61], v[60:61], s[18:19], -v[68:69]
	v_fma_f64 v[62:63], v[62:63], s[18:19], -v[70:71]
	v_fma_f64 v[68:69], v[8:9], s[26:27], v[76:77]
	v_fma_f64 v[70:71], v[10:11], s[26:27], v[78:79]
	;; [unrolled: 1-line block ×6, first 2 shown]
	v_add_f64_e32 v[90:91], v[21:22], v[82:83]
	v_add_f64_e32 v[92:93], v[23:24], v[84:85]
	;; [unrolled: 1-line block ×5, first 2 shown]
	v_fma_f64 v[48:49], v[16:17], s[26:27], v[54:55]
	v_fma_f64 v[54:55], v[18:19], s[26:27], v[80:81]
	;; [unrolled: 1-line block ×3, first 2 shown]
	v_add_f64_e32 v[88:89], v[29:30], v[25:26]
	v_add_f64_e32 v[94:95], v[31:32], v[27:28]
	;; [unrolled: 1-line block ×3, first 2 shown]
	v_fma_f64 v[80:81], v[16:17], s[26:27], v[86:87]
	v_fma_f64 v[84:85], v[16:17], s[26:27], v[33:34]
	;; [unrolled: 1-line block ×3, first 2 shown]
	v_add_f64_e32 v[96:97], v[64:65], v[25:26]
	v_add_f64_e32 v[98:99], v[66:67], v[27:28]
	;; [unrolled: 1-line block ×5, first 2 shown]
	v_add_f64_e64 v[10:11], v[92:93], -v[68:69]
	v_add_f64_e32 v[12:13], v[78:79], v[37:38]
	v_add_f64_e64 v[26:27], v[37:38], -v[78:79]
	v_add_f64_e64 v[16:17], v[21:22], -v[52:53]
	v_add_f64_e32 v[18:19], v[50:51], v[46:47]
	v_add_f64_e32 v[22:23], v[52:53], v[21:22]
	v_add_f64_e64 v[24:25], v[46:47], -v[50:51]
	v_add_f64_e32 v[34:35], v[54:55], v[88:89]
	v_add_f64_e64 v[36:37], v[94:95], -v[48:49]
	v_add_f64_e64 v[14:15], v[39:40], -v[76:77]
	v_add_f64_e32 v[28:29], v[76:77], v[39:40]
	v_add_f64_e64 v[30:31], v[90:91], -v[70:71]
	v_add_f64_e32 v[32:33], v[68:69], v[92:93]
	v_add_f64_e32 v[38:39], v[86:87], v[96:97]
	v_add_f64_e64 v[40:41], v[98:99], -v[84:85]
	v_add_f64_e64 v[60:61], v[64:65], -v[82:83]
	v_add_f64_e32 v[62:63], v[80:81], v[66:67]
	v_add_f64_e32 v[64:65], v[82:83], v[64:65]
	v_add_f64_e64 v[66:67], v[66:67], -v[80:81]
	v_add_f64_e64 v[68:69], v[96:97], -v[86:87]
	v_add_f64_e32 v[70:71], v[84:85], v[98:99]
	v_add_f64_e64 v[76:77], v[88:89], -v[54:55]
	v_add_f64_e32 v[78:79], v[48:49], v[94:95]
	ds_store_b128 v20, v[0:3]
	ds_store_b128 v20, v[4:7] offset:896
	ds_store_b128 v20, v[8:11] offset:1920
	ds_store_b128 v20, v[34:37] offset:2816
	ds_store_b128 v20, v[12:15] offset:3840
	ds_store_b128 v20, v[38:41] offset:4736
	ds_store_b128 v20, v[16:19] offset:5760
	ds_store_b128 v20, v[60:63] offset:6656
	ds_store_b128 v20, v[22:25] offset:7680
	ds_store_b128 v20, v[64:67] offset:8576
	ds_store_b128 v20, v[26:29] offset:9600
	ds_store_b128 v20, v[68:71] offset:10496
	ds_store_b128 v20, v[30:33] offset:11520
	ds_store_b128 v20, v[76:79] offset:12416
	s_and_saveexec_b32 s1, s0
	s_cbranch_execz .LBB0_37
; %bb.36:
	s_clause 0x5
	scratch_load_b128 v[33:36], off, off offset:420 th:TH_LOAD_LU
	scratch_load_b128 v[37:40], off, off offset:436 th:TH_LOAD_LU
	scratch_load_b128 v[25:28], off, off offset:388 th:TH_LOAD_LU
	scratch_load_b128 v[29:32], off, off offset:404 th:TH_LOAD_LU
	scratch_load_b128 v[50:53], off, off offset:468 th:TH_LOAD_LU
	scratch_load_b128 v[46:49], off, off offset:452 th:TH_LOAD_LU
	s_wait_loadcnt 0x5
	v_mul_f64_e32 v[0:1], v[35:36], v[208:209]
	s_wait_loadcnt 0x4
	v_mul_f64_e32 v[4:5], v[39:40], v[204:205]
	;; [unrolled: 2-line block ×4, first 2 shown]
	v_mul_f64_e32 v[8:9], v[27:28], v[74:75]
	v_mul_f64_e32 v[10:11], v[35:36], v[210:211]
	;; [unrolled: 1-line block ×4, first 2 shown]
	s_wait_loadcnt 0x1
	v_mul_f64_e32 v[16:17], v[52:53], v[44:45]
	s_wait_loadcnt 0x0
	v_mul_f64_e32 v[18:19], v[48:49], v[194:195]
	v_mul_f64_e32 v[21:22], v[48:49], v[192:193]
	;; [unrolled: 1-line block ×3, first 2 shown]
	v_fma_f64 v[0:1], v[33:34], v[210:211], -v[0:1]
	v_fma_f64 v[4:5], v[37:38], v[206:207], -v[4:5]
	v_fma_f64 v[2:3], v[25:26], v[74:75], -v[2:3]
	v_fma_f64 v[6:7], v[29:30], v[202:203], -v[6:7]
	v_fma_f64 v[8:9], v[25:26], v[72:73], v[8:9]
	v_fma_f64 v[10:11], v[33:34], v[208:209], v[10:11]
	;; [unrolled: 1-line block ×6, first 2 shown]
	v_fma_f64 v[21:22], v[46:47], v[194:195], -v[21:22]
	v_fma_f64 v[23:24], v[50:51], v[44:45], -v[23:24]
	v_add_f64_e32 v[25:26], v[2:3], v[0:1]
	v_add_f64_e32 v[27:28], v[6:7], v[4:5]
	v_add_f64_e64 v[4:5], v[6:7], -v[4:5]
	v_add_f64_e32 v[29:30], v[8:9], v[10:11]
	v_add_f64_e64 v[8:9], v[8:9], -v[10:11]
	;; [unrolled: 2-line block ×3, first 2 shown]
	v_add_f64_e64 v[33:34], v[16:17], -v[18:19]
	v_add_f64_e32 v[16:17], v[18:19], v[16:17]
	v_add_f64_e32 v[14:15], v[21:22], v[23:24]
	v_add_f64_e64 v[18:19], v[23:24], -v[21:22]
	v_add_f64_e64 v[6:7], v[2:3], -v[0:1]
	v_add_f64_e32 v[10:11], v[27:28], v[25:26]
	v_add_f64_e32 v[0:1], v[31:32], v[29:30]
	v_add_f64_e64 v[35:36], v[12:13], -v[8:9]
	v_add_f64_e64 v[2:3], v[33:34], -v[12:13]
	v_add_f64_e64 v[23:24], v[29:30], -v[16:17]
	v_add_f64_e64 v[21:22], v[25:26], -v[14:15]
	v_add_f64_e64 v[37:38], v[18:19], -v[4:5]
	v_add_f64_e64 v[39:40], v[4:5], -v[6:7]
	v_add_f64_e64 v[43:44], v[8:9], -v[33:34]
	v_add_f64_e32 v[12:13], v[33:34], v[12:13]
	v_add_f64_e32 v[4:5], v[18:19], v[4:5]
	v_add_f64_e64 v[18:19], v[6:7], -v[18:19]
	v_add_f64_e64 v[25:26], v[27:28], -v[25:26]
	;; [unrolled: 1-line block ×3, first 2 shown]
	v_add_f64_e32 v[10:11], v[14:15], v[10:11]
	v_add_f64_e64 v[14:15], v[14:15], -v[27:28]
	v_add_f64_e32 v[41:42], v[16:17], v[0:1]
	v_add_f64_e64 v[16:17], v[16:17], -v[31:32]
	v_mul_f64_e32 v[33:34], s[16:17], v[2:3]
	v_mul_f64_e32 v[23:24], s[14:15], v[23:24]
	;; [unrolled: 1-line block ×6, first 2 shown]
	v_add_f64_e32 v[8:9], v[12:13], v[8:9]
	v_add_f64_e32 v[4:5], v[4:5], v[6:7]
	;; [unrolled: 1-line block ×3, first 2 shown]
	v_mul_f64_e32 v[27:28], s[10:11], v[14:15]
	v_add_f64_e32 v[0:1], v[56:57], v[41:42]
	v_mul_f64_e32 v[31:32], s[10:11], v[16:17]
	v_fma_f64 v[6:7], v[43:44], s[22:23], v[33:34]
	v_fma_f64 v[33:34], v[35:36], s[2:3], -v[33:34]
	v_fma_f64 v[12:13], v[14:15], s[10:11], v[21:22]
	v_fma_f64 v[14:15], v[16:17], s[10:11], v[23:24]
	v_fma_f64 v[16:17], v[43:44], s[24:25], -v[45:46]
	v_fma_f64 v[21:22], v[25:26], s[20:21], -v[21:22]
	;; [unrolled: 1-line block ×4, first 2 shown]
	v_fma_f64 v[10:11], v[10:11], s[12:13], v[2:3]
	v_fma_f64 v[25:26], v[25:26], s[18:19], -v[27:28]
	v_fma_f64 v[27:28], v[18:19], s[22:23], v[37:38]
	v_fma_f64 v[18:19], v[18:19], s[24:25], -v[47:48]
	;; [unrolled: 2-line block ×3, first 2 shown]
	v_fma_f64 v[31:32], v[8:9], s[26:27], v[6:7]
	v_fma_f64 v[16:17], v[8:9], s[26:27], v[16:17]
	;; [unrolled: 1-line block ×3, first 2 shown]
	v_add_f64_e32 v[12:13], v[12:13], v[10:11]
	v_add_f64_e32 v[25:26], v[25:26], v[10:11]
	v_fma_f64 v[33:34], v[4:5], s[26:27], v[27:28]
	v_fma_f64 v[39:40], v[4:5], s[26:27], v[18:19]
	;; [unrolled: 1-line block ×3, first 2 shown]
	v_add_f64_e32 v[35:36], v[14:15], v[37:38]
	v_add_f64_e32 v[21:22], v[21:22], v[10:11]
	;; [unrolled: 1-line block ×4, first 2 shown]
	v_add_f64_e64 v[28:29], v[12:13], -v[31:32]
	v_add_f64_e64 v[14:15], v[25:26], -v[8:9]
	v_add_f64_e32 v[18:19], v[8:9], v[25:26]
	v_add_f64_e32 v[6:7], v[31:32], v[12:13]
	;; [unrolled: 1-line block ×4, first 2 shown]
	v_add_f64_e64 v[24:25], v[21:22], -v[16:17]
	v_add_f64_e32 v[22:23], v[39:40], v[41:42]
	v_add_f64_e64 v[16:17], v[37:38], -v[4:5]
	v_add_f64_e32 v[12:13], v[4:5], v[37:38]
	v_add_f64_e64 v[8:9], v[41:42], -v[39:40]
	v_add_f64_e64 v[4:5], v[35:36], -v[33:34]
	ds_store_b128 v20, v[0:3] offset:1792
	ds_store_b128 v20, v[26:29] offset:3712
	;; [unrolled: 1-line block ×7, first 2 shown]
.LBB0_37:
	s_wait_alu 0xfffe
	s_or_b32 exec_lo, exec_lo, s1
	global_wb scope:SCOPE_SE
	s_wait_dscnt 0x0
	s_barrier_signal -1
	s_barrier_wait -1
	global_inv scope:SCOPE_SE
	ds_load_b128 v[0:3], v20
	ds_load_b128 v[4:7], v20 offset:6720
	ds_load_b128 v[8:11], v20 offset:896
	s_clause 0x3
	scratch_load_b64 v[12:13], off, off offset:12 th:TH_LOAD_LU
	scratch_load_b32 v75, off, off offset:20 th:TH_LOAD_LU
	scratch_load_b128 v[95:98], off, off offset:40 th:TH_LOAD_LU
	scratch_load_b128 v[91:94], off, off offset:24 th:TH_LOAD_LU
	s_movk_i32 s12, 0xfe94
	s_mul_u64 s[0:1], s[4:5], 0x1a4
	s_mov_b32 s13, -1
	s_wait_alu 0xfffe
	s_lshl_b64 s[10:11], s[0:1], 4
	s_mul_u64 s[0:1], s[4:5], s[12:13]
	s_mov_b32 s2, 0x13813814
	s_wait_alu 0xfffe
	s_lshl_b64 s[12:13], s[0:1], 4
	s_mov_b32 s3, 0x3f538138
	ds_load_b128 v[16:19], v20 offset:7616
	s_wait_loadcnt 0x3
	v_mov_b32_e32 v74, v12
	ds_load_b128 v[12:15], v20 offset:5376
	s_wait_loadcnt_dscnt 0x104
	v_mul_f64_e32 v[44:45], v[97:98], v[2:3]
	v_mul_f64_e32 v[46:47], v[97:98], v[0:1]
	scratch_load_b128 v[97:100], off, off offset:56 th:TH_LOAD_LU ; 16-byte Folded Reload
	ds_load_b128 v[22:25], v20 offset:1792
	ds_load_b128 v[26:29], v20 offset:8512
	;; [unrolled: 1-line block ×9, first 2 shown]
	s_clause 0x1
	scratch_load_b128 v[105:108], off, off offset:72 th:TH_LOAD_LU
	scratch_load_b128 v[111:114], off, off offset:104 th:TH_LOAD_LU
	v_mad_co_u64_u32 v[42:43], null, s6, v74, 0
	v_mad_co_u64_u32 v[72:73], null, s4, v75, 0
	s_wait_loadcnt_dscnt 0x30c
	v_mul_f64_e32 v[48:49], v[93:94], v[6:7]
	v_mul_f64_e32 v[50:51], v[93:94], v[4:5]
	scratch_load_b128 v[121:124], off, off offset:168 th:TH_LOAD_LU ; 16-byte Folded Reload
	v_mov_b32_e32 v21, v43
	v_mov_b32_e32 v43, v73
	s_wait_dscnt 0x8
	s_delay_alu instid0(VALU_DEP_2) | instskip(NEXT) | instid1(VALU_DEP_2)
	v_mad_co_u64_u32 v[73:74], null, s7, v74, v[21:22]
	v_mad_co_u64_u32 v[74:75], null, s5, v75, v[43:44]
	v_fma_f64 v[0:1], v[95:96], v[0:1], v[44:45]
	v_fma_f64 v[2:3], v[95:96], v[2:3], -v[46:47]
	s_delay_alu instid0(VALU_DEP_4) | instskip(NEXT) | instid1(VALU_DEP_4)
	v_mov_b32_e32 v43, v73
	v_mov_b32_e32 v73, v74
	s_delay_alu instid0(VALU_DEP_2) | instskip(SKIP_2) | instid1(VALU_DEP_4)
	v_lshlrev_b64_e32 v[42:43], 4, v[42:43]
	v_fma_f64 v[4:5], v[91:92], v[4:5], v[48:49]
	v_fma_f64 v[6:7], v[91:92], v[6:7], -v[50:51]
	v_lshlrev_b64_e32 v[72:73], 4, v[72:73]
	s_delay_alu instid0(VALU_DEP_4) | instskip(SKIP_2) | instid1(VALU_DEP_2)
	v_add_co_u32 v21, s0, s8, v42
	s_wait_alu 0xf1ff
	v_add_co_ci_u32_e64 v74, s0, s9, v43, s0
	v_add_co_u32 v72, s0, v21, v72
	s_wait_alu 0xf1ff
	s_delay_alu instid0(VALU_DEP_2) | instskip(NEXT) | instid1(VALU_DEP_2)
	v_add_co_ci_u32_e64 v73, s0, v74, v73, s0
	v_add_co_u32 v74, s0, v72, s10
	s_wait_alu 0xfffe
	v_mul_f64_e32 v[0:1], s[2:3], v[0:1]
	v_mul_f64_e32 v[2:3], s[2:3], v[2:3]
	;; [unrolled: 1-line block ×4, first 2 shown]
	s_wait_loadcnt 0x3
	v_mul_f64_e32 v[52:53], v[99:100], v[10:11]
	v_mul_f64_e32 v[54:55], v[99:100], v[8:9]
	s_wait_loadcnt 0x2
	v_mul_f64_e32 v[75:76], v[107:108], v[18:19]
	v_mul_f64_e32 v[77:78], v[107:108], v[16:17]
	;; [unrolled: 3-line block ×3, first 2 shown]
	s_clause 0x1
	scratch_load_b128 v[107:110], off, off offset:88 th:TH_LOAD_LU
	scratch_load_b128 v[113:116], off, off offset:120 th:TH_LOAD_LU
	s_wait_loadcnt_dscnt 0x203
	v_mul_f64_e32 v[48:49], v[123:124], v[58:59]
	v_mul_f64_e32 v[50:51], v[123:124], v[56:57]
	scratch_load_b128 v[123:126], off, off offset:184 th:TH_LOAD_LU ; 16-byte Folded Reload
	v_fma_f64 v[8:9], v[97:98], v[8:9], v[52:53]
	v_fma_f64 v[10:11], v[97:98], v[10:11], -v[54:55]
	v_fma_f64 v[16:17], v[105:106], v[16:17], v[75:76]
	v_fma_f64 v[18:19], v[105:106], v[18:19], -v[77:78]
	;; [unrolled: 2-line block ×3, first 2 shown]
	s_wait_alu 0xf1ff
	v_add_co_ci_u32_e64 v75, s0, s11, v73, s0
	v_mul_f64_e32 v[8:9], s[2:3], v[8:9]
	v_mul_f64_e32 v[10:11], s[2:3], v[10:11]
	s_wait_loadcnt 0x2
	v_mul_f64_e32 v[83:84], v[109:110], v[28:29]
	s_wait_loadcnt 0x1
	v_mul_f64_e32 v[87:88], v[115:116], v[32:33]
	v_mul_f64_e32 v[89:90], v[115:116], v[30:31]
	scratch_load_b128 v[115:118], off, off offset:136 th:TH_LOAD_LU ; 16-byte Folded Reload
	v_mul_f64_e32 v[85:86], v[109:110], v[26:27]
	s_wait_loadcnt_dscnt 0x102
	v_mul_f64_e32 v[91:92], v[125:126], v[62:63]
	v_mul_f64_e32 v[93:94], v[125:126], v[60:61]
	scratch_load_b128 v[125:128], off, off offset:200 th:TH_LOAD_LU ; 16-byte Folded Reload
	v_fma_f64 v[25:26], v[107:108], v[26:27], v[83:84]
	v_fma_f64 v[27:28], v[107:108], v[28:29], -v[85:86]
	v_fma_f64 v[29:30], v[113:114], v[30:31], v[87:88]
	v_fma_f64 v[31:32], v[113:114], v[32:33], -v[89:90]
	s_wait_loadcnt 0x1
	v_mul_f64_e32 v[44:45], v[117:118], v[36:37]
	v_mul_f64_e32 v[46:47], v[117:118], v[34:35]
	scratch_load_b128 v[117:120], off, off offset:152 th:TH_LOAD_LU ; 16-byte Folded Reload
	s_wait_loadcnt_dscnt 0x101
	v_mul_f64_e32 v[95:96], v[127:128], v[66:67]
	v_mul_f64_e32 v[97:98], v[127:128], v[64:65]
	scratch_load_b128 v[127:130], off, off offset:216 th:TH_LOAD_LU ; 16-byte Folded Reload
	v_fma_f64 v[33:34], v[115:116], v[34:35], v[44:45]
	v_fma_f64 v[35:36], v[115:116], v[36:37], -v[46:47]
	v_fma_f64 v[46:47], v[121:122], v[56:57], v[48:49]
	v_fma_f64 v[48:49], v[121:122], v[58:59], -v[50:51]
	v_fma_f64 v[50:51], v[123:124], v[60:61], v[91:92]
	v_add_co_u32 v44, s0, v74, s12
	s_wait_alu 0xf1ff
	v_add_co_ci_u32_e64 v45, s0, s13, v75, s0
	v_fma_f64 v[56:57], v[125:126], v[66:67], -v[97:98]
	s_delay_alu instid0(VALU_DEP_3) | instskip(SKIP_1) | instid1(VALU_DEP_3)
	v_add_co_u32 v66, s0, v44, s10
	s_wait_alu 0xf1ff
	v_add_co_ci_u32_e64 v67, s0, s11, v45, s0
	s_wait_loadcnt 0x1
	v_mul_f64_e32 v[52:53], v[119:120], v[40:41]
	v_mul_f64_e32 v[54:55], v[119:120], v[38:39]
	s_wait_loadcnt 0x0
	v_mul_f64_e32 v[99:100], v[129:130], v[14:15]
	v_mul_f64_e32 v[101:102], v[129:130], v[12:13]
	scratch_load_b128 v[129:132], off, off offset:232 th:TH_LOAD_LU ; 16-byte Folded Reload
	s_clause 0x2
	global_store_b128 v[72:73], v[0:3], off
	global_store_b128 v[74:75], v[4:7], off
	;; [unrolled: 1-line block ×3, first 2 shown]
	v_mul_f64_e32 v[0:1], s[2:3], v[29:30]
	v_mul_f64_e32 v[2:3], s[2:3], v[31:32]
	;; [unrolled: 1-line block ×8, first 2 shown]
	v_fma_f64 v[37:38], v[117:118], v[38:39], v[52:53]
	v_fma_f64 v[39:40], v[117:118], v[40:41], -v[54:55]
	v_fma_f64 v[52:53], v[123:124], v[62:63], -v[93:94]
	v_fma_f64 v[54:55], v[125:126], v[64:65], v[95:96]
	v_fma_f64 v[58:59], v[127:128], v[12:13], v[99:100]
	v_fma_f64 v[60:61], v[127:128], v[14:15], -v[101:102]
	v_mul_f64_e32 v[12:13], s[2:3], v[16:17]
	v_mul_f64_e32 v[14:15], s[2:3], v[18:19]
	;; [unrolled: 1-line block ×12, first 2 shown]
	global_store_b128 v[66:67], v[12:15], off
	s_wait_loadcnt_dscnt 0x0
	v_mul_f64_e32 v[103:104], v[131:132], v[70:71]
	v_mul_f64_e32 v[42:43], v[131:132], v[68:69]
	s_delay_alu instid0(VALU_DEP_2) | instskip(NEXT) | instid1(VALU_DEP_2)
	v_fma_f64 v[62:63], v[129:130], v[68:69], v[103:104]
	v_fma_f64 v[64:65], v[129:130], v[70:71], -v[42:43]
	v_add_co_u32 v68, s0, v66, s12
	s_wait_alu 0xf1ff
	v_add_co_ci_u32_e64 v69, s0, s13, v67, s0
	s_delay_alu instid0(VALU_DEP_2) | instskip(SKIP_1) | instid1(VALU_DEP_2)
	v_add_co_u32 v70, s0, v68, s10
	s_wait_alu 0xf1ff
	v_add_co_ci_u32_e64 v71, s0, s11, v69, s0
	global_store_b128 v[68:69], v[16:19], off
	v_add_co_u32 v72, s0, v70, s12
	s_wait_alu 0xf1ff
	v_add_co_ci_u32_e64 v73, s0, s13, v71, s0
	global_store_b128 v[70:71], v[21:24], off
	;; [unrolled: 4-line block ×5, first 2 shown]
	v_add_co_u32 v16, s0, v14, s12
	s_wait_alu 0xf1ff
	v_add_co_ci_u32_e64 v17, s0, s13, v15, s0
	s_delay_alu instid0(VALU_DEP_2) | instskip(SKIP_1) | instid1(VALU_DEP_2)
	v_add_co_u32 v2, s0, v16, s10
	s_wait_alu 0xf1ff
	v_add_co_ci_u32_e64 v3, s0, s11, v17, s0
	v_mul_f64_e32 v[41:42], s[2:3], v[62:63]
	v_mul_f64_e32 v[43:44], s[2:3], v[64:65]
	v_add_co_u32 v4, s0, v2, s12
	s_wait_alu 0xf1ff
	v_add_co_ci_u32_e64 v5, s0, s13, v3, s0
	s_delay_alu instid0(VALU_DEP_2) | instskip(SKIP_1) | instid1(VALU_DEP_2)
	v_add_co_u32 v0, s0, v4, s10
	s_wait_alu 0xf1ff
	v_add_co_ci_u32_e64 v1, s0, s11, v5, s0
	global_store_b128 v[14:15], v[25:28], off
	global_store_b128 v[16:17], v[29:32], off
	;; [unrolled: 1-line block ×5, first 2 shown]
	s_and_b32 exec_lo, exec_lo, vcc_lo
	s_cbranch_execz .LBB0_39
; %bb.38:
	scratch_load_b64 v[16:17], off, off th:TH_LOAD_LU ; 8-byte Folded Reload
	s_wait_loadcnt 0x0
	global_load_b128 v[2:5], v[16:17], off offset:6272
	ds_load_b128 v[6:9], v20 offset:6272
	ds_load_b128 v[10:13], v20 offset:12992
	s_wait_loadcnt_dscnt 0x1
	v_mul_f64_e32 v[14:15], v[8:9], v[4:5]
	v_mul_f64_e32 v[4:5], v[6:7], v[4:5]
	s_delay_alu instid0(VALU_DEP_2) | instskip(NEXT) | instid1(VALU_DEP_2)
	v_fma_f64 v[6:7], v[6:7], v[2:3], v[14:15]
	v_fma_f64 v[4:5], v[2:3], v[8:9], -v[4:5]
	s_delay_alu instid0(VALU_DEP_2) | instskip(NEXT) | instid1(VALU_DEP_2)
	v_mul_f64_e32 v[2:3], s[2:3], v[6:7]
	v_mul_f64_e32 v[4:5], s[2:3], v[4:5]
	v_add_co_u32 v6, vcc_lo, v0, s12
	s_wait_alu 0xfffd
	v_add_co_ci_u32_e32 v7, vcc_lo, s13, v1, vcc_lo
	global_store_b128 v[6:7], v[2:5], off
	global_load_b128 v[0:3], v[16:17], off offset:12992
	s_wait_loadcnt_dscnt 0x0
	v_mul_f64_e32 v[4:5], v[12:13], v[2:3]
	v_mul_f64_e32 v[2:3], v[10:11], v[2:3]
	s_delay_alu instid0(VALU_DEP_2) | instskip(NEXT) | instid1(VALU_DEP_2)
	v_fma_f64 v[4:5], v[10:11], v[0:1], v[4:5]
	v_fma_f64 v[2:3], v[0:1], v[12:13], -v[2:3]
	s_delay_alu instid0(VALU_DEP_2) | instskip(NEXT) | instid1(VALU_DEP_2)
	v_mul_f64_e32 v[0:1], s[2:3], v[4:5]
	v_mul_f64_e32 v[2:3], s[2:3], v[2:3]
	v_add_co_u32 v4, vcc_lo, v6, s10
	s_wait_alu 0xfffd
	v_add_co_ci_u32_e32 v5, vcc_lo, s11, v7, vcc_lo
	global_store_b128 v[4:5], v[0:3], off
.LBB0_39:
	s_nop 0
	s_sendmsg sendmsg(MSG_DEALLOC_VGPRS)
	s_endpgm
	.section	.rodata,"a",@progbits
	.p2align	6, 0x0
	.amdhsa_kernel bluestein_single_fwd_len840_dim1_dp_op_CI_CI
		.amdhsa_group_segment_fixed_size 13440
		.amdhsa_private_segment_fixed_size 488
		.amdhsa_kernarg_size 104
		.amdhsa_user_sgpr_count 2
		.amdhsa_user_sgpr_dispatch_ptr 0
		.amdhsa_user_sgpr_queue_ptr 0
		.amdhsa_user_sgpr_kernarg_segment_ptr 1
		.amdhsa_user_sgpr_dispatch_id 0
		.amdhsa_user_sgpr_private_segment_size 0
		.amdhsa_wavefront_size32 1
		.amdhsa_uses_dynamic_stack 0
		.amdhsa_enable_private_segment 1
		.amdhsa_system_sgpr_workgroup_id_x 1
		.amdhsa_system_sgpr_workgroup_id_y 0
		.amdhsa_system_sgpr_workgroup_id_z 0
		.amdhsa_system_sgpr_workgroup_info 0
		.amdhsa_system_vgpr_workitem_id 0
		.amdhsa_next_free_vgpr 256
		.amdhsa_next_free_sgpr 30
		.amdhsa_reserve_vcc 1
		.amdhsa_float_round_mode_32 0
		.amdhsa_float_round_mode_16_64 0
		.amdhsa_float_denorm_mode_32 3
		.amdhsa_float_denorm_mode_16_64 3
		.amdhsa_fp16_overflow 0
		.amdhsa_workgroup_processor_mode 1
		.amdhsa_memory_ordered 1
		.amdhsa_forward_progress 0
		.amdhsa_round_robin_scheduling 0
		.amdhsa_exception_fp_ieee_invalid_op 0
		.amdhsa_exception_fp_denorm_src 0
		.amdhsa_exception_fp_ieee_div_zero 0
		.amdhsa_exception_fp_ieee_overflow 0
		.amdhsa_exception_fp_ieee_underflow 0
		.amdhsa_exception_fp_ieee_inexact 0
		.amdhsa_exception_int_div_zero 0
	.end_amdhsa_kernel
	.text
.Lfunc_end0:
	.size	bluestein_single_fwd_len840_dim1_dp_op_CI_CI, .Lfunc_end0-bluestein_single_fwd_len840_dim1_dp_op_CI_CI
                                        ; -- End function
	.section	.AMDGPU.csdata,"",@progbits
; Kernel info:
; codeLenInByte = 23252
; NumSgprs: 32
; NumVgprs: 256
; ScratchSize: 488
; MemoryBound: 0
; FloatMode: 240
; IeeeMode: 1
; LDSByteSize: 13440 bytes/workgroup (compile time only)
; SGPRBlocks: 3
; VGPRBlocks: 31
; NumSGPRsForWavesPerEU: 32
; NumVGPRsForWavesPerEU: 256
; Occupancy: 5
; WaveLimiterHint : 1
; COMPUTE_PGM_RSRC2:SCRATCH_EN: 1
; COMPUTE_PGM_RSRC2:USER_SGPR: 2
; COMPUTE_PGM_RSRC2:TRAP_HANDLER: 0
; COMPUTE_PGM_RSRC2:TGID_X_EN: 1
; COMPUTE_PGM_RSRC2:TGID_Y_EN: 0
; COMPUTE_PGM_RSRC2:TGID_Z_EN: 0
; COMPUTE_PGM_RSRC2:TIDIG_COMP_CNT: 0
	.text
	.p2alignl 7, 3214868480
	.fill 96, 4, 3214868480
	.type	__hip_cuid_eb76517468d3134f,@object ; @__hip_cuid_eb76517468d3134f
	.section	.bss,"aw",@nobits
	.globl	__hip_cuid_eb76517468d3134f
__hip_cuid_eb76517468d3134f:
	.byte	0                               ; 0x0
	.size	__hip_cuid_eb76517468d3134f, 1

	.ident	"AMD clang version 19.0.0git (https://github.com/RadeonOpenCompute/llvm-project roc-6.4.0 25133 c7fe45cf4b819c5991fe208aaa96edf142730f1d)"
	.section	".note.GNU-stack","",@progbits
	.addrsig
	.addrsig_sym __hip_cuid_eb76517468d3134f
	.amdgpu_metadata
---
amdhsa.kernels:
  - .args:
      - .actual_access:  read_only
        .address_space:  global
        .offset:         0
        .size:           8
        .value_kind:     global_buffer
      - .actual_access:  read_only
        .address_space:  global
        .offset:         8
        .size:           8
        .value_kind:     global_buffer
      - .actual_access:  read_only
        .address_space:  global
        .offset:         16
        .size:           8
        .value_kind:     global_buffer
      - .actual_access:  read_only
        .address_space:  global
        .offset:         24
        .size:           8
        .value_kind:     global_buffer
      - .actual_access:  read_only
        .address_space:  global
        .offset:         32
        .size:           8
        .value_kind:     global_buffer
      - .offset:         40
        .size:           8
        .value_kind:     by_value
      - .address_space:  global
        .offset:         48
        .size:           8
        .value_kind:     global_buffer
      - .address_space:  global
        .offset:         56
        .size:           8
        .value_kind:     global_buffer
      - .address_space:  global
        .offset:         64
        .size:           8
        .value_kind:     global_buffer
      - .address_space:  global
        .offset:         72
        .size:           8
        .value_kind:     global_buffer
      - .offset:         80
        .size:           4
        .value_kind:     by_value
      - .address_space:  global
        .offset:         88
        .size:           8
        .value_kind:     global_buffer
      - .address_space:  global
        .offset:         96
        .size:           8
        .value_kind:     global_buffer
    .group_segment_fixed_size: 13440
    .kernarg_segment_align: 8
    .kernarg_segment_size: 104
    .language:       OpenCL C
    .language_version:
      - 2
      - 0
    .max_flat_workgroup_size: 56
    .name:           bluestein_single_fwd_len840_dim1_dp_op_CI_CI
    .private_segment_fixed_size: 488
    .sgpr_count:     32
    .sgpr_spill_count: 0
    .symbol:         bluestein_single_fwd_len840_dim1_dp_op_CI_CI.kd
    .uniform_work_group_size: 1
    .uses_dynamic_stack: false
    .vgpr_count:     256
    .vgpr_spill_count: 121
    .wavefront_size: 32
    .workgroup_processor_mode: 1
amdhsa.target:   amdgcn-amd-amdhsa--gfx1201
amdhsa.version:
  - 1
  - 2
...

	.end_amdgpu_metadata
